;; amdgpu-corpus repo=ROCm/rocFFT kind=compiled arch=gfx1201 opt=O3
	.text
	.amdgcn_target "amdgcn-amd-amdhsa--gfx1201"
	.amdhsa_code_object_version 6
	.protected	fft_rtc_back_len1456_factors_13_4_7_2_2_wgs_182_tpt_182_halfLds_half_op_CI_CI_unitstride_sbrr_R2C_dirReg ; -- Begin function fft_rtc_back_len1456_factors_13_4_7_2_2_wgs_182_tpt_182_halfLds_half_op_CI_CI_unitstride_sbrr_R2C_dirReg
	.globl	fft_rtc_back_len1456_factors_13_4_7_2_2_wgs_182_tpt_182_halfLds_half_op_CI_CI_unitstride_sbrr_R2C_dirReg
	.p2align	8
	.type	fft_rtc_back_len1456_factors_13_4_7_2_2_wgs_182_tpt_182_halfLds_half_op_CI_CI_unitstride_sbrr_R2C_dirReg,@function
fft_rtc_back_len1456_factors_13_4_7_2_2_wgs_182_tpt_182_halfLds_half_op_CI_CI_unitstride_sbrr_R2C_dirReg: ; @fft_rtc_back_len1456_factors_13_4_7_2_2_wgs_182_tpt_182_halfLds_half_op_CI_CI_unitstride_sbrr_R2C_dirReg
; %bb.0:
	s_clause 0x2
	s_load_b128 s[8:11], s[0:1], 0x0
	s_load_b128 s[4:7], s[0:1], 0x58
	;; [unrolled: 1-line block ×3, first 2 shown]
	v_mul_u32_u24_e32 v1, 0x169, v0
	v_mov_b32_e32 v3, 0
	v_mov_b32_e32 v7, 0
	;; [unrolled: 1-line block ×3, first 2 shown]
	s_delay_alu instid0(VALU_DEP_4) | instskip(NEXT) | instid1(VALU_DEP_1)
	v_lshrrev_b32_e32 v1, 16, v1
	v_dual_mov_b32 v10, v3 :: v_dual_add_nc_u32 v9, ttmp9, v1
	s_wait_kmcnt 0x0
	v_cmp_lt_u64_e64 s2, s[10:11], 2
	s_delay_alu instid0(VALU_DEP_1)
	s_and_b32 vcc_lo, exec_lo, s2
	s_cbranch_vccnz .LBB0_8
; %bb.1:
	s_load_b64 s[2:3], s[0:1], 0x10
	v_mov_b32_e32 v7, 0
	v_mov_b32_e32 v8, 0
	s_delay_alu instid0(VALU_DEP_2)
	v_mov_b32_e32 v1, v7
	s_add_nc_u64 s[16:17], s[14:15], 8
	s_add_nc_u64 s[18:19], s[12:13], 8
	s_mov_b64 s[20:21], 1
	v_mov_b32_e32 v2, v8
	s_wait_kmcnt 0x0
	s_add_nc_u64 s[22:23], s[2:3], 8
	s_mov_b32 s3, 0
.LBB0_2:                                ; =>This Inner Loop Header: Depth=1
	s_load_b64 s[24:25], s[22:23], 0x0
                                        ; implicit-def: $vgpr5_vgpr6
	s_mov_b32 s2, exec_lo
	s_wait_kmcnt 0x0
	v_or_b32_e32 v4, s25, v10
	s_delay_alu instid0(VALU_DEP_1)
	v_cmpx_ne_u64_e32 0, v[3:4]
	s_wait_alu 0xfffe
	s_xor_b32 s26, exec_lo, s2
	s_cbranch_execz .LBB0_4
; %bb.3:                                ;   in Loop: Header=BB0_2 Depth=1
	s_cvt_f32_u32 s2, s24
	s_cvt_f32_u32 s27, s25
	s_sub_nc_u64 s[30:31], 0, s[24:25]
	s_wait_alu 0xfffe
	s_delay_alu instid0(SALU_CYCLE_1) | instskip(SKIP_1) | instid1(SALU_CYCLE_2)
	s_fmamk_f32 s2, s27, 0x4f800000, s2
	s_wait_alu 0xfffe
	v_s_rcp_f32 s2, s2
	s_delay_alu instid0(TRANS32_DEP_1) | instskip(SKIP_1) | instid1(SALU_CYCLE_2)
	s_mul_f32 s2, s2, 0x5f7ffffc
	s_wait_alu 0xfffe
	s_mul_f32 s27, s2, 0x2f800000
	s_wait_alu 0xfffe
	s_delay_alu instid0(SALU_CYCLE_2) | instskip(SKIP_1) | instid1(SALU_CYCLE_2)
	s_trunc_f32 s27, s27
	s_wait_alu 0xfffe
	s_fmamk_f32 s2, s27, 0xcf800000, s2
	s_cvt_u32_f32 s29, s27
	s_wait_alu 0xfffe
	s_delay_alu instid0(SALU_CYCLE_1) | instskip(SKIP_1) | instid1(SALU_CYCLE_2)
	s_cvt_u32_f32 s28, s2
	s_wait_alu 0xfffe
	s_mul_u64 s[34:35], s[30:31], s[28:29]
	s_wait_alu 0xfffe
	s_mul_hi_u32 s37, s28, s35
	s_mul_i32 s36, s28, s35
	s_mul_hi_u32 s2, s28, s34
	s_mul_i32 s33, s29, s34
	s_wait_alu 0xfffe
	s_add_nc_u64 s[36:37], s[2:3], s[36:37]
	s_mul_hi_u32 s27, s29, s34
	s_mul_hi_u32 s38, s29, s35
	s_add_co_u32 s2, s36, s33
	s_wait_alu 0xfffe
	s_add_co_ci_u32 s2, s37, s27
	s_mul_i32 s34, s29, s35
	s_add_co_ci_u32 s35, s38, 0
	s_wait_alu 0xfffe
	s_add_nc_u64 s[34:35], s[2:3], s[34:35]
	s_wait_alu 0xfffe
	v_add_co_u32 v4, s2, s28, s34
	s_delay_alu instid0(VALU_DEP_1) | instskip(SKIP_1) | instid1(VALU_DEP_1)
	s_cmp_lg_u32 s2, 0
	s_add_co_ci_u32 s29, s29, s35
	v_readfirstlane_b32 s28, v4
	s_wait_alu 0xfffe
	s_delay_alu instid0(VALU_DEP_1)
	s_mul_u64 s[30:31], s[30:31], s[28:29]
	s_wait_alu 0xfffe
	s_mul_hi_u32 s35, s28, s31
	s_mul_i32 s34, s28, s31
	s_mul_hi_u32 s2, s28, s30
	s_mul_i32 s33, s29, s30
	s_wait_alu 0xfffe
	s_add_nc_u64 s[34:35], s[2:3], s[34:35]
	s_mul_hi_u32 s27, s29, s30
	s_mul_hi_u32 s28, s29, s31
	s_wait_alu 0xfffe
	s_add_co_u32 s2, s34, s33
	s_add_co_ci_u32 s2, s35, s27
	s_mul_i32 s30, s29, s31
	s_add_co_ci_u32 s31, s28, 0
	s_wait_alu 0xfffe
	s_add_nc_u64 s[30:31], s[2:3], s[30:31]
	s_wait_alu 0xfffe
	v_add_co_u32 v6, s2, v4, s30
	s_delay_alu instid0(VALU_DEP_1) | instskip(SKIP_1) | instid1(VALU_DEP_1)
	s_cmp_lg_u32 s2, 0
	s_add_co_ci_u32 s2, s29, s31
	v_mul_hi_u32 v15, v9, v6
	s_wait_alu 0xfffe
	v_mad_co_u64_u32 v[4:5], null, v9, s2, 0
	v_mad_co_u64_u32 v[11:12], null, v10, v6, 0
	;; [unrolled: 1-line block ×3, first 2 shown]
	s_delay_alu instid0(VALU_DEP_3) | instskip(SKIP_1) | instid1(VALU_DEP_4)
	v_add_co_u32 v4, vcc_lo, v15, v4
	s_wait_alu 0xfffd
	v_add_co_ci_u32_e32 v5, vcc_lo, 0, v5, vcc_lo
	s_delay_alu instid0(VALU_DEP_2) | instskip(SKIP_1) | instid1(VALU_DEP_2)
	v_add_co_u32 v4, vcc_lo, v4, v11
	s_wait_alu 0xfffd
	v_add_co_ci_u32_e32 v4, vcc_lo, v5, v12, vcc_lo
	s_wait_alu 0xfffd
	v_add_co_ci_u32_e32 v5, vcc_lo, 0, v14, vcc_lo
	s_delay_alu instid0(VALU_DEP_2) | instskip(SKIP_1) | instid1(VALU_DEP_2)
	v_add_co_u32 v11, vcc_lo, v4, v13
	s_wait_alu 0xfffd
	v_add_co_ci_u32_e32 v6, vcc_lo, 0, v5, vcc_lo
	s_delay_alu instid0(VALU_DEP_2) | instskip(SKIP_1) | instid1(VALU_DEP_3)
	v_mul_lo_u32 v12, s25, v11
	v_mad_co_u64_u32 v[4:5], null, s24, v11, 0
	v_mul_lo_u32 v13, s24, v6
	s_delay_alu instid0(VALU_DEP_2) | instskip(NEXT) | instid1(VALU_DEP_2)
	v_sub_co_u32 v4, vcc_lo, v9, v4
	v_add3_u32 v5, v5, v13, v12
	s_delay_alu instid0(VALU_DEP_1) | instskip(SKIP_1) | instid1(VALU_DEP_1)
	v_sub_nc_u32_e32 v12, v10, v5
	s_wait_alu 0xfffd
	v_subrev_co_ci_u32_e64 v12, s2, s25, v12, vcc_lo
	v_add_co_u32 v13, s2, v11, 2
	s_wait_alu 0xf1ff
	v_add_co_ci_u32_e64 v14, s2, 0, v6, s2
	v_sub_co_u32 v15, s2, v4, s24
	v_sub_co_ci_u32_e32 v5, vcc_lo, v10, v5, vcc_lo
	s_wait_alu 0xf1ff
	v_subrev_co_ci_u32_e64 v12, s2, 0, v12, s2
	s_delay_alu instid0(VALU_DEP_3) | instskip(NEXT) | instid1(VALU_DEP_3)
	v_cmp_le_u32_e32 vcc_lo, s24, v15
	v_cmp_eq_u32_e64 s2, s25, v5
	s_wait_alu 0xfffd
	v_cndmask_b32_e64 v15, 0, -1, vcc_lo
	v_cmp_le_u32_e32 vcc_lo, s25, v12
	s_wait_alu 0xfffd
	v_cndmask_b32_e64 v16, 0, -1, vcc_lo
	v_cmp_le_u32_e32 vcc_lo, s24, v4
	;; [unrolled: 3-line block ×3, first 2 shown]
	s_wait_alu 0xfffd
	v_cndmask_b32_e64 v17, 0, -1, vcc_lo
	v_cmp_eq_u32_e32 vcc_lo, s25, v12
	s_wait_alu 0xf1ff
	s_delay_alu instid0(VALU_DEP_2)
	v_cndmask_b32_e64 v4, v17, v4, s2
	s_wait_alu 0xfffd
	v_cndmask_b32_e32 v12, v16, v15, vcc_lo
	v_add_co_u32 v15, vcc_lo, v11, 1
	s_wait_alu 0xfffd
	v_add_co_ci_u32_e32 v16, vcc_lo, 0, v6, vcc_lo
	s_delay_alu instid0(VALU_DEP_3) | instskip(SKIP_1) | instid1(VALU_DEP_2)
	v_cmp_ne_u32_e32 vcc_lo, 0, v12
	s_wait_alu 0xfffd
	v_dual_cndmask_b32 v5, v16, v14 :: v_dual_cndmask_b32 v12, v15, v13
	v_cmp_ne_u32_e32 vcc_lo, 0, v4
	s_wait_alu 0xfffd
	s_delay_alu instid0(VALU_DEP_2)
	v_dual_cndmask_b32 v6, v6, v5 :: v_dual_cndmask_b32 v5, v11, v12
.LBB0_4:                                ;   in Loop: Header=BB0_2 Depth=1
	s_wait_alu 0xfffe
	s_and_not1_saveexec_b32 s2, s26
	s_cbranch_execz .LBB0_6
; %bb.5:                                ;   in Loop: Header=BB0_2 Depth=1
	v_cvt_f32_u32_e32 v4, s24
	s_sub_co_i32 s26, 0, s24
	s_delay_alu instid0(VALU_DEP_1) | instskip(NEXT) | instid1(TRANS32_DEP_1)
	v_rcp_iflag_f32_e32 v4, v4
	v_mul_f32_e32 v4, 0x4f7ffffe, v4
	s_delay_alu instid0(VALU_DEP_1) | instskip(SKIP_1) | instid1(VALU_DEP_1)
	v_cvt_u32_f32_e32 v4, v4
	s_wait_alu 0xfffe
	v_mul_lo_u32 v5, s26, v4
	s_delay_alu instid0(VALU_DEP_1) | instskip(NEXT) | instid1(VALU_DEP_1)
	v_mul_hi_u32 v5, v4, v5
	v_add_nc_u32_e32 v4, v4, v5
	s_delay_alu instid0(VALU_DEP_1) | instskip(NEXT) | instid1(VALU_DEP_1)
	v_mul_hi_u32 v4, v9, v4
	v_mul_lo_u32 v5, v4, s24
	v_add_nc_u32_e32 v6, 1, v4
	s_delay_alu instid0(VALU_DEP_2) | instskip(NEXT) | instid1(VALU_DEP_1)
	v_sub_nc_u32_e32 v5, v9, v5
	v_subrev_nc_u32_e32 v11, s24, v5
	v_cmp_le_u32_e32 vcc_lo, s24, v5
	s_wait_alu 0xfffd
	s_delay_alu instid0(VALU_DEP_2) | instskip(NEXT) | instid1(VALU_DEP_1)
	v_dual_cndmask_b32 v5, v5, v11 :: v_dual_cndmask_b32 v4, v4, v6
	v_cmp_le_u32_e32 vcc_lo, s24, v5
	s_delay_alu instid0(VALU_DEP_2) | instskip(SKIP_1) | instid1(VALU_DEP_1)
	v_add_nc_u32_e32 v6, 1, v4
	s_wait_alu 0xfffd
	v_dual_cndmask_b32 v5, v4, v6 :: v_dual_mov_b32 v6, v3
.LBB0_6:                                ;   in Loop: Header=BB0_2 Depth=1
	s_wait_alu 0xfffe
	s_or_b32 exec_lo, exec_lo, s2
	s_delay_alu instid0(VALU_DEP_1) | instskip(NEXT) | instid1(VALU_DEP_2)
	v_mul_lo_u32 v4, v6, s24
	v_mul_lo_u32 v13, v5, s25
	s_load_b64 s[26:27], s[18:19], 0x0
	v_mad_co_u64_u32 v[11:12], null, v5, s24, 0
	s_load_b64 s[24:25], s[16:17], 0x0
	s_add_nc_u64 s[20:21], s[20:21], 1
	s_add_nc_u64 s[16:17], s[16:17], 8
	s_wait_alu 0xfffe
	v_cmp_ge_u64_e64 s2, s[20:21], s[10:11]
	s_add_nc_u64 s[18:19], s[18:19], 8
	s_add_nc_u64 s[22:23], s[22:23], 8
	v_add3_u32 v4, v12, v13, v4
	v_sub_co_u32 v9, vcc_lo, v9, v11
	s_wait_alu 0xfffd
	s_delay_alu instid0(VALU_DEP_2) | instskip(SKIP_2) | instid1(VALU_DEP_1)
	v_sub_co_ci_u32_e32 v4, vcc_lo, v10, v4, vcc_lo
	s_and_b32 vcc_lo, exec_lo, s2
	s_wait_kmcnt 0x0
	v_mul_lo_u32 v10, s26, v4
	v_mul_lo_u32 v11, s27, v9
	v_mad_co_u64_u32 v[7:8], null, s26, v9, v[7:8]
	v_mul_lo_u32 v4, s24, v4
	v_mul_lo_u32 v12, s25, v9
	v_mad_co_u64_u32 v[1:2], null, s24, v9, v[1:2]
	s_delay_alu instid0(VALU_DEP_4) | instskip(NEXT) | instid1(VALU_DEP_2)
	v_add3_u32 v8, v11, v8, v10
	v_add3_u32 v2, v12, v2, v4
	s_wait_alu 0xfffe
	s_cbranch_vccnz .LBB0_9
; %bb.7:                                ;   in Loop: Header=BB0_2 Depth=1
	v_dual_mov_b32 v10, v6 :: v_dual_mov_b32 v9, v5
	s_branch .LBB0_2
.LBB0_8:
	v_dual_mov_b32 v1, v7 :: v_dual_mov_b32 v2, v8
	v_dual_mov_b32 v5, v9 :: v_dual_mov_b32 v6, v10
.LBB0_9:
	s_load_b64 s[0:1], s[0:1], 0x28
	v_mul_hi_u32 v4, 0x1681682, v0
                                        ; implicit-def: $vgpr3
	s_wait_kmcnt 0x0
	s_delay_alu instid0(VALU_DEP_2) | instskip(SKIP_1) | instid1(VALU_DEP_1)
	v_cmp_gt_u64_e32 vcc_lo, s[0:1], v[5:6]
	v_cmp_le_u64_e64 s0, s[0:1], v[5:6]
	s_and_saveexec_b32 s1, s0
	s_wait_alu 0xfffe
	s_xor_b32 s0, exec_lo, s1
; %bb.10:
	s_delay_alu instid0(VALU_DEP_3) | instskip(NEXT) | instid1(VALU_DEP_1)
	v_mul_u32_u24_e32 v3, 0xb6, v4
                                        ; implicit-def: $vgpr4
                                        ; implicit-def: $vgpr7_vgpr8
	v_sub_nc_u32_e32 v3, v0, v3
                                        ; implicit-def: $vgpr0
; %bb.11:
	s_wait_alu 0xfffe
	s_or_saveexec_b32 s1, s0
	s_lshl_b64 s[2:3], s[10:11], 3
	s_wait_alu 0xfffe
	s_xor_b32 exec_lo, exec_lo, s1
	s_cbranch_execz .LBB0_13
; %bb.12:
	s_add_nc_u64 s[10:11], s[12:13], s[2:3]
	v_lshlrev_b64_e32 v[7:8], 2, v[7:8]
	s_load_b64 s[10:11], s[10:11], 0x0
	s_wait_kmcnt 0x0
	v_mul_lo_u32 v3, s11, v5
	v_mul_lo_u32 v11, s10, v6
	v_mad_co_u64_u32 v[9:10], null, s10, v5, 0
	s_delay_alu instid0(VALU_DEP_1) | instskip(SKIP_1) | instid1(VALU_DEP_2)
	v_add3_u32 v10, v10, v11, v3
	v_mul_u32_u24_e32 v3, 0xb6, v4
	v_lshlrev_b64_e32 v[9:10], 2, v[9:10]
	s_delay_alu instid0(VALU_DEP_2) | instskip(NEXT) | instid1(VALU_DEP_2)
	v_sub_nc_u32_e32 v3, v0, v3
	v_add_co_u32 v0, s0, s4, v9
	s_wait_alu 0xf1ff
	s_delay_alu instid0(VALU_DEP_3) | instskip(NEXT) | instid1(VALU_DEP_3)
	v_add_co_ci_u32_e64 v4, s0, s5, v10, s0
	v_lshlrev_b32_e32 v9, 2, v3
	s_delay_alu instid0(VALU_DEP_3) | instskip(SKIP_1) | instid1(VALU_DEP_3)
	v_add_co_u32 v0, s0, v0, v7
	s_wait_alu 0xf1ff
	v_add_co_ci_u32_e64 v4, s0, v4, v8, s0
	s_delay_alu instid0(VALU_DEP_2) | instskip(SKIP_1) | instid1(VALU_DEP_2)
	v_add_co_u32 v7, s0, v0, v9
	s_wait_alu 0xf1ff
	v_add_co_ci_u32_e64 v8, s0, 0, v4, s0
	s_clause 0x7
	global_load_b32 v0, v[7:8], off
	global_load_b32 v4, v[7:8], off offset:728
	global_load_b32 v10, v[7:8], off offset:1456
	;; [unrolled: 1-line block ×7, first 2 shown]
	v_add_nc_u32_e32 v8, 0, v9
	s_delay_alu instid0(VALU_DEP_1)
	v_add_nc_u32_e32 v9, 0x500, v8
	v_add_nc_u32_e32 v15, 0xb00, v8
	v_add_nc_u32_e32 v16, 0x1000, v8
	s_wait_loadcnt 0x6
	ds_store_2addr_b32 v8, v0, v4 offset1:182
	s_wait_loadcnt 0x4
	ds_store_2addr_b32 v9, v10, v11 offset0:44 offset1:226
	s_wait_loadcnt 0x2
	ds_store_2addr_b32 v15, v12, v13 offset0:24 offset1:206
	;; [unrolled: 2-line block ×3, first 2 shown]
.LBB0_13:
	s_or_b32 exec_lo, exec_lo, s1
	v_lshl_add_u32 v0, v3, 2, 0
	global_wb scope:SCOPE_SE
	s_wait_dscnt 0x0
	s_barrier_signal -1
	s_barrier_wait -1
	global_inv scope:SCOPE_SE
	ds_load_b32 v29, v0 offset:5376
	ds_load_2addr_b32 v[13:14], v0 offset1:112
	v_add_nc_u32_e32 v4, 0x200, v0
	v_add_nc_u32_e32 v7, 0x1000, v0
	;; [unrolled: 1-line block ×4, first 2 shown]
	ds_load_2addr_b32 v[23:24], v4 offset0:96 offset1:208
	ds_load_2addr_b32 v[15:16], v7 offset0:96 offset1:208
	v_add_nc_u32_e32 v4, 0xa00, v0
	ds_load_2addr_b32 v[17:18], v8 offset0:128 offset1:240
	ds_load_2addr_b32 v[21:22], v28 offset0:64 offset1:176
	s_add_nc_u64 s[2:3], s[14:15], s[2:3]
	s_mov_b32 s1, exec_lo
	ds_load_2addr_b32 v[19:20], v4 offset0:32 offset1:144
	global_wb scope:SCOPE_SE
	s_wait_dscnt 0x0
	s_barrier_signal -1
	s_barrier_wait -1
	global_inv scope:SCOPE_SE
	v_pk_add_f16 v31, v14, v29 neg_lo:[0,1] neg_hi:[0,1]
	v_pk_add_f16 v30, v29, v14
	v_lshrrev_b32_e32 v37, 16, v13
	s_delay_alu instid0(VALU_DEP_3) | instskip(SKIP_1) | instid1(VALU_DEP_4)
	v_lshrrev_b32_e32 v8, 16, v31
	v_pk_add_f16 v33, v23, v16 neg_lo:[0,1] neg_hi:[0,1]
	v_lshrrev_b32_e32 v9, 16, v30
	v_pk_add_f16 v32, v16, v23
	v_pk_mul_f16 v4, 0xb770, v31 op_sel_hi:[0,1]
	v_mul_f16_e32 v43, 0xba95, v8
	v_mul_f16_e32 v49, 0xbbf1, v8
	;; [unrolled: 1-line block ×4, first 2 shown]
	v_lshrrev_b32_e32 v8, 16, v33
	v_mul_f16_e32 v53, 0x2fb7, v9
	v_mul_f16_e32 v74, 0xb9fd, v9
	v_fma_f16 v9, v30, 0x388b, -v43
	v_fma_f16 v10, v30, 0x2fb7, -v49
	v_mul_f16_e32 v44, 0xbb7b, v8
	v_mul_f16_e32 v52, 0xb3a8, v8
	v_fma_f16 v12, v30, 0xb5ac, -v61
	v_add_f16_e32 v9, v13, v9
	v_add_f16_e32 v10, v13, v10
	v_fma_f16 v36, v32, 0xb5ac, -v44
	v_lshrrev_b32_e32 v27, 16, v32
	v_fma_f16 v38, v32, 0xbbc4, -v52
	v_mul_f16_e32 v63, 0x394e, v8
	v_pk_fma_f16 v34, 0x3b15, v30, v4 op_sel:[0,0,1] op_sel_hi:[0,1,0] neg_lo:[0,0,1] neg_hi:[0,0,1]
	v_add_f16_e32 v9, v36, v9
	v_pk_add_f16 v36, v15, v24
	v_pk_fma_f16 v35, 0x3b15, v30, v4 op_sel:[0,0,1] op_sel_hi:[0,1,0]
	v_pk_mul_f16 v4, 0xba95, v33 op_sel_hi:[0,1]
	v_fmamk_f16 v11, v31, 0xbbf1, v53
	v_add_f16_e32 v12, v13, v12
	v_mul_f16_e32 v59, 0xbbc4, v27
	v_add_f16_e32 v10, v38, v10
	v_mul_f16_e32 v76, 0x3bf1, v8
	v_fma_f16 v8, v32, 0xb9fd, -v63
	v_pk_add_f16 v38, v24, v15 neg_lo:[0,1] neg_hi:[0,1]
	v_lshrrev_b32_e32 v40, 16, v36
	v_fma_f16 v25, v30, 0xb9fd, -v72
	v_add_f16_e32 v11, v37, v11
	v_pk_fma_f16 v39, 0x388b, v32, v4 op_sel:[0,0,1] op_sel_hi:[0,1,0] neg_lo:[0,0,1] neg_hi:[0,0,1]
	v_pk_fma_f16 v42, 0x388b, v32, v4 op_sel:[0,0,1] op_sel_hi:[0,1,0]
	v_fmamk_f16 v4, v33, 0xb3a8, v59
	v_add_f16_e32 v8, v8, v12
	v_lshrrev_b32_e32 v12, 16, v38
	v_mul_f16_e32 v66, 0xb5ac, v40
	v_add_f16_e32 v25, v13, v25
	v_add_f16_e32 v4, v4, v11
	v_fma_f16 v11, v32, 0x2fb7, -v76
	v_mul_f16_e32 v70, 0x3770, v12
	v_fmamk_f16 v41, v38, 0x3b7b, v66
	v_fmamk_f16 v26, v31, 0xb94e, v74
	v_mul_f16_e32 v78, 0x2fb7, v27
	v_add_f16_e32 v11, v11, v25
	v_pk_mul_f16 v25, 0xbbf1, v38 op_sel_hi:[0,1]
	v_mul_f16_e32 v50, 0xb3a8, v12
	v_mul_f16_e32 v62, 0x3b7b, v12
	;; [unrolled: 1-line block ×3, first 2 shown]
	v_fma_f16 v12, v36, 0x3b15, -v70
	v_add_f16_e32 v4, v41, v4
	v_pk_add_f16 v41, v21, v18 neg_lo:[0,1] neg_hi:[0,1]
	v_add_f16_e32 v26, v37, v26
	v_fmamk_f16 v27, v33, 0x3bf1, v78
	v_pk_fma_f16 v47, 0x2fb7, v36, v25 op_sel:[0,0,1] op_sel_hi:[0,1,0] neg_lo:[0,0,1] neg_hi:[0,0,1]
	v_pk_fma_f16 v48, 0x2fb7, v36, v25 op_sel:[0,0,1] op_sel_hi:[0,1,0]
	v_fma_f16 v25, v36, 0xb5ac, -v62
	v_mul_f16_e32 v82, 0x388b, v40
	v_add_f16_e32 v8, v12, v8
	v_pk_add_f16 v40, v18, v21
	v_lshrrev_b32_e32 v12, 16, v41
	v_add_f16_e32 v26, v27, v26
	v_fma_f16 v27, v36, 0xbbc4, -v50
	v_add_f16_e32 v10, v25, v10
	v_fma_f16 v25, v36, 0x388b, -v80
	v_lshrrev_b32_e32 v45, 16, v40
	v_mul_f16_e32 v65, 0x3770, v12
	v_add_f16_e32 v9, v27, v9
	v_pk_mul_f16 v27, 0xbb7b, v41 op_sel_hi:[0,1]
	v_add_f16_e32 v11, v25, v11
	v_fmamk_f16 v25, v38, 0xba95, v82
	v_mul_f16_e32 v57, 0x394e, v12
	v_mul_f16_e32 v71, 0x3b15, v45
	v_fma_f16 v46, v40, 0x3b15, -v65
	v_pk_fma_f16 v51, 0xb5ac, v40, v27 op_sel:[0,0,1] op_sel_hi:[0,1,0] neg_lo:[0,0,1] neg_hi:[0,0,1]
	v_add_f16_e32 v25, v25, v26
	v_fma_f16 v26, v40, 0xb9fd, -v57
	v_mul_f16_e32 v73, 0xbbf1, v12
	v_pk_fma_f16 v56, 0xb5ac, v40, v27 op_sel:[0,0,1] op_sel_hi:[0,1,0]
	v_fmamk_f16 v27, v41, 0x3770, v71
	v_add_f16_e32 v10, v46, v10
	v_pk_add_f16 v46, v22, v17 neg_lo:[0,1] neg_hi:[0,1]
	v_add_f16_e32 v9, v26, v9
	v_fma_f16 v26, v40, 0x2fb7, -v73
	v_add_f16_e32 v4, v27, v4
	v_mul_f16_e32 v84, 0xbbc4, v45
	v_lshrrev_b32_e32 v27, 16, v46
	v_mul_f16_e32 v83, 0x33a8, v12
	v_add_f16_e32 v8, v26, v8
	v_pk_add_f16 v45, v17, v22
	v_fmamk_f16 v26, v41, 0x33a8, v84
	v_mul_f16_e32 v64, 0x3bf1, v27
	v_fma_f16 v12, v40, 0xbbc4, -v83
	v_pk_mul_f16 v54, 0xb94e, v46 op_sel_hi:[0,1]
	v_mul_f16_e32 v67, 0xba95, v27
	v_add_f16_e32 v25, v26, v25
	v_fma_f16 v26, v45, 0x2fb7, -v64
	v_add_f16_e32 v11, v12, v11
	v_lshrrev_b32_e32 v12, 16, v45
	v_pk_fma_f16 v58, 0xb9fd, v45, v54 op_sel:[0,0,1] op_sel_hi:[0,1,0] neg_lo:[0,0,1] neg_hi:[0,0,1]
	v_pk_fma_f16 v60, 0xb9fd, v45, v54 op_sel:[0,0,1] op_sel_hi:[0,1,0]
	v_fma_f16 v54, v45, 0x388b, -v67
	v_add_f16_e32 v9, v26, v9
	v_lshrrev_b32_e32 v26, 16, v35
	v_mul_f16_e32 v75, 0x388b, v12
	v_mul_f16_e32 v88, 0x3b15, v12
	v_add_f16_e32 v97, v54, v10
	v_lshrrev_b32_e32 v12, 16, v48
	v_add_f16_e32 v10, v37, v26
	v_lshrrev_b32_e32 v26, 16, v42
	v_fmamk_f16 v55, v46, 0xba95, v75
	v_mul_f16_e32 v87, 0x3770, v27
	v_mul_f16_e32 v79, 0x33a8, v27
	v_pk_mul_f16 v94, 0x388bb5ac, v30 op_sel:[0,1]
	v_add_f16_e32 v10, v26, v10
	v_add_f16_e32 v91, v55, v4
	;; [unrolled: 1-line block ×3, first 2 shown]
	v_pk_add_f16 v55, v19, v20 neg_lo:[0,1] neg_hi:[0,1]
	v_fma_f16 v26, v45, 0x3b15, -v87
	v_add_f16_e32 v10, v12, v10
	v_lshrrev_b32_e32 v12, 16, v56
	v_add_f16_e32 v4, v39, v4
	v_fma_f16 v68, v45, 0xbbc4, -v79
	v_pk_add_f16 v54, v20, v19
	v_pk_mul_f16 v27, 0xb3a8, v55 op_sel_hi:[0,1]
	v_add_f16_e32 v10, v12, v10
	v_lshrrev_b32_e32 v12, 16, v60
	v_add_f16_e32 v4, v47, v4
	v_add_f16_e32 v98, v26, v11
	v_fmamk_f16 v11, v46, 0x3770, v88
	v_pk_mul_f16 v89, 0xb5acb9fd, v32 op_sel:[0,1]
	v_add_f16_e32 v12, v12, v10
	v_pk_fma_f16 v10, 0xba95bb7b, v31, v94 op_sel_hi:[1,0,1]
	v_add_f16_e32 v8, v68, v8
	v_pk_fma_f16 v68, 0xbbc4, v54, v27 op_sel:[0,0,1] op_sel_hi:[0,1,0] neg_lo:[0,0,1] neg_hi:[0,0,1]
	v_add_f16_e32 v4, v51, v4
	v_pk_fma_f16 v69, 0xbbc4, v54, v27 op_sel:[0,0,1] op_sel_hi:[0,1,0]
	v_lshrrev_b32_e32 v26, 16, v55
	v_lshrrev_b32_e32 v27, 16, v54
	v_add_f16_e32 v99, v11, v25
	v_pk_add_f16 v11, v13, v10 op_sel:[1,0]
	v_pk_fma_f16 v25, 0xbb7b394e, v33, v89 op_sel_hi:[1,0,1]
	v_pk_mul_f16 v92, 0xbbc43b15, v36 op_sel:[0,1]
	v_add_f16_e32 v4, v58, v4
	v_lshrrev_b32_e32 v81, 16, v69
	v_mul_f16_e32 v77, 0x3770, v26
	v_mul_f16_e32 v85, 0xb9fd, v27
	v_pk_add_f16 v11, v25, v11
	v_pk_fma_f16 v25, 0xb3a83770, v38, v92 op_sel_hi:[1,0,1]
	v_pk_mul_f16 v93, 0xb9fd2fb7, v40 op_sel:[0,1]
	v_add_f16_e32 v10, v68, v4
	v_add_f16_e32 v4, v81, v12
	v_fma_f16 v12, v54, 0x3b15, -v77
	v_mul_f16_e32 v81, 0xb94e, v26
	v_fmamk_f16 v95, v55, 0xb94e, v85
	v_pk_add_f16 v11, v25, v11
	v_pk_fma_f16 v96, 0x394ebbf1, v41, v93 op_sel_hi:[1,0,1]
	v_pk_mul_f16 v90, 0x2fb7bbc4, v45 op_sel:[0,1]
	v_mul_f16_e32 v86, 0x3a95, v26
	v_add_f16_e32 v9, v12, v9
	v_fma_f16 v12, v54, 0xb9fd, -v81
	v_add_f16_e32 v25, v95, v91
	v_pk_add_f16 v11, v96, v11
	v_pk_fma_f16 v100, 0x3bf133a8, v46, v90 op_sel_hi:[1,0,1]
	v_pk_mul_f16 v91, 0x3b15388b, v54 op_sel:[0,1]
	v_mul_f16_e32 v95, 0xb5ac, v27
	v_mul_f16_e32 v96, 0xbb7b, v26
	v_fma_f16 v27, v54, 0x388b, -v86
	v_pk_add_f16 v26, v100, v11
	v_pk_fma_f16 v100, 0x37703a95, v55, v91 op_sel_hi:[1,0,1]
	v_fmamk_f16 v101, v55, 0xbb7b, v95
	v_add_f16_e32 v12, v12, v97
	v_fma_f16 v97, v54, 0xb5ac, -v96
	v_add_f16_e32 v11, v27, v8
	v_pk_add_f16 v26, v100, v26
	v_add_f16_e32 v27, v101, v99
	s_delay_alu instid0(VALU_DEP_4)
	v_add_f16_e32 v8, v97, v98
	v_cmpx_gt_u32_e32 0x70, v3
	s_cbranch_execz .LBB0_15
; %bb.14:
	v_mul_f16_e32 v101, 0xb9fd, v30
	v_mul_f16_e32 v102, 0xb94e, v31
	;; [unrolled: 1-line block ×5, first 2 shown]
	v_add_f16_e32 v72, v101, v72
	v_sub_f16_e32 v74, v74, v102
	v_add_f16_e32 v76, v107, v76
	v_mul_f16_e32 v101, 0xba95, v38
	v_sub_f16_e32 v78, v78, v108
	v_add_f16_e32 v72, v13, v72
	v_add_f16_e32 v74, v37, v74
	;; [unrolled: 1-line block ×3, first 2 shown]
	v_mul_f16_e32 v112, 0xbbc4, v40
	v_sub_f16_e32 v82, v82, v101
	v_add_f16_e32 v72, v76, v72
	v_add_f16_e32 v74, v78, v74
	v_mul_f16_e32 v76, 0x33a8, v41
	v_add_f16_e32 v83, v112, v83
	v_mul_f16_e32 v98, 0x2fb7, v30
	v_add_f16_e32 v72, v80, v72
	v_add_f16_e32 v74, v82, v74
	v_sub_f16_e32 v76, v84, v76
	v_mul_f16_e32 v80, 0x3770, v46
	v_mul_f16_e32 v100, 0xb5ac, v30
	v_add_f16_e32 v72, v83, v72
	v_mul_f16_e32 v83, 0xbb7b, v55
	v_mul_f16_e32 v104, 0xbbc4, v32
	v_add_f16_e32 v74, v76, v74
	v_mul_f16_e32 v76, 0x3b15, v45
	v_sub_f16_e32 v80, v88, v80
	v_sub_f16_e32 v83, v95, v83
	v_pk_mul_f16 v95, 0xba95bb7b, v31 op_sel_hi:[1,0]
	v_add_f16_e32 v49, v98, v49
	v_pk_add_f16 v14, v13, v14
	v_mul_f16_e32 v99, 0xbbf1, v31
	v_mul_f16_e32 v110, 0xb5ac, v36
	v_add_f16_e32 v76, v76, v87
	v_add_f16_e32 v74, v80, v74
	v_mul_f16_e32 v80, 0xb5ac, v54
	v_pk_add_f16 v94, v94, v95 neg_lo:[0,1] neg_hi:[0,1]
	v_add_f16_e32 v61, v100, v61
	v_pk_mul_f16 v100, 0xbb7b394e, v33 op_sel_hi:[1,0]
	v_add_f16_e32 v49, v13, v49
	v_add_f16_e32 v52, v104, v52
	v_pk_add_f16 v14, v14, v23
	v_mul_f16_e32 v97, 0x388b, v30
	v_mul_f16_e32 v106, 0xb9fd, v32
	;; [unrolled: 1-line block ×3, first 2 shown]
	v_add_f16_e32 v72, v76, v72
	v_add_f16_e32 v80, v80, v96
	;; [unrolled: 1-line block ×3, first 2 shown]
	v_pk_mul_f16 v83, 0xb3a83770, v38 op_sel_hi:[1,0]
	v_pk_add_f16 v89, v89, v100 neg_lo:[0,1] neg_hi:[0,1]
	v_sub_f16_e32 v53, v53, v99
	v_add_f16_e32 v49, v52, v49
	v_add_f16_e32 v52, v110, v62
	v_lshrrev_b32_e32 v62, 16, v94
	v_pk_add_f16 v14, v14, v24
	v_mul_f16_e32 v103, 0xb5ac, v32
	v_add_f16_e32 v72, v80, v72
	v_pk_mul_f16 v80, 0x394ebbf1, v41 op_sel_hi:[1,0]
	v_add_f16_e32 v63, v106, v63
	v_add_f16_e32 v106, v37, v94
	v_pk_add_f16 v83, v92, v83 neg_lo:[0,1] neg_hi:[0,1]
	v_add_f16_e32 v53, v37, v53
	v_add_f16_e32 v49, v52, v49
	;; [unrolled: 1-line block ×5, first 2 shown]
	v_lshrrev_b32_e32 v62, 16, v89
	v_pk_add_f16 v14, v14, v21
	v_mul_f16_e32 v109, 0xbbc4, v36
	v_mul_f16_e32 v102, 0x3b15, v36
	v_pk_mul_f16 v100, 0x3bf133a8, v46 op_sel_hi:[1,0]
	v_add_f16_e32 v61, v13, v61
	v_pk_add_f16 v80, v93, v80 neg_lo:[0,1] neg_hi:[0,1]
	v_add_f16_e32 v43, v13, v43
	v_add_f16_e32 v44, v103, v44
	;; [unrolled: 1-line block ×4, first 2 shown]
	v_lshrrev_b32_e32 v49, 16, v83
	v_pk_add_f16 v14, v14, v22
	v_mul_f16_e32 v108, 0xb9fd, v40
	v_mul_f16_e32 v101, 0x2fb7, v40
	v_pk_mul_f16 v92, 0x37703a95, v55 op_sel_hi:[1,0]
	v_add_f16_e32 v61, v63, v61
	v_add_f16_e32 v63, v102, v70
	v_pk_add_f16 v70, v90, v100 neg_lo:[0,1] neg_hi:[0,1]
	v_add_f16_e32 v43, v44, v43
	v_add_f16_e32 v24, v109, v50
	;; [unrolled: 1-line block ×3, first 2 shown]
	v_lshrrev_b32_e32 v49, 16, v80
	v_pk_add_f16 v14, v14, v19
	v_mul_f16_e32 v82, 0x2fb7, v45
	v_add_f16_e32 v61, v63, v61
	v_add_f16_e32 v63, v101, v73
	v_pk_add_f16 v73, v91, v92 neg_lo:[0,1] neg_hi:[0,1]
	v_add_f16_e32 v21, v24, v43
	v_add_f16_e32 v24, v108, v57
	;; [unrolled: 1-line block ×3, first 2 shown]
	v_lshrrev_b32_e32 v22, 16, v70
	v_pk_add_f16 v14, v14, v20
	v_mul_f16_e32 v87, 0x3b15, v54
	v_add_f16_e32 v21, v24, v21
	v_add_f16_e32 v24, v82, v64
	v_add_f16_e32 v19, v22, v37
	v_lshrrev_b32_e32 v22, 16, v73
	v_pk_add_f16 v14, v14, v17
	v_bfi_b32 v17, 0xffff, v35, v34
	v_add_f16_e32 v21, v24, v21
	v_add_f16_e32 v24, v87, v77
	v_add_f16_e32 v19, v22, v19
	v_bfi_b32 v22, 0xffff, v42, v39
	v_pk_add_f16 v14, v14, v18
	v_pk_add_f16 v17, v13, v17
	v_pk_mul_f16 v18, 0xb3a8, v31 op_sel_hi:[0,1]
	v_mul_f16_e32 v105, 0xb3a8, v33
	v_add_f16_e32 v21, v24, v21
	v_bfi_b32 v24, 0xffff, v48, v47
	v_pk_add_f16 v14, v14, v15
	v_pk_add_f16 v15, v22, v17
	v_pk_fma_f16 v17, 0xbbc4, v30, v18 op_sel:[0,0,1] op_sel_hi:[0,1,0]
	v_pk_fma_f16 v18, 0xbbc4, v30, v18 op_sel:[0,0,1] op_sel_hi:[0,1,0] neg_lo:[0,0,1] neg_hi:[0,0,1]
	v_pk_mul_f16 v22, 0x3770, v33 op_sel_hi:[0,1]
	v_mul_f16_e32 v111, 0x3b7b, v38
	v_sub_f16_e32 v59, v59, v105
	v_pk_add_f16 v14, v14, v16
	v_pk_add_f16 v15, v24, v15
	v_bfi_b32 v16, 0xffff, v17, v18
	v_pk_fma_f16 v24, 0x3b15, v32, v22 op_sel:[0,0,1] op_sel_hi:[0,1,0]
	v_pk_fma_f16 v22, 0x3b15, v32, v22 op_sel:[0,0,1] op_sel_hi:[0,1,0] neg_lo:[0,0,1] neg_hi:[0,0,1]
	v_pk_mul_f16 v32, 0xb94e, v38 op_sel_hi:[0,1]
	v_bfi_b32 v17, 0xffff, v18, v17
	v_mul_f16_e32 v78, 0x3770, v41
	v_add_f16_e32 v53, v59, v53
	v_sub_f16_e32 v59, v66, v111
	v_add_f16_e32 v93, v89, v106
	v_bfi_b32 v34, 0xffff, v56, v51
	v_pk_add_f16 v14, v14, v29
	v_pk_add_f16 v16, v13, v16
	v_bfi_b32 v29, 0xffff, v24, v22
	v_pk_fma_f16 v33, 0xb9fd, v36, v32 op_sel:[0,0,1] op_sel_hi:[0,1,0]
	v_pk_fma_f16 v32, 0xb9fd, v36, v32 op_sel:[0,0,1] op_sel_hi:[0,1,0] neg_lo:[0,0,1] neg_hi:[0,0,1]
	v_pk_mul_f16 v18, 0x3a95, v41 op_sel_hi:[0,1]
	v_pk_add_f16 v13, v13, v17
	v_bfi_b32 v17, 0xffff, v22, v24
	v_mul_f16_e32 v84, 0x388b, v45
	v_mul_f16_e32 v112, 0xba95, v46
	v_add_f16_e32 v53, v59, v53
	v_sub_f16_e32 v59, v71, v78
	v_mul_f16_e32 v88, 0xbbc4, v45
	v_add_f16_e32 v90, v83, v93
	v_bfi_b32 v31, 0xffff, v60, v58
	v_pk_add_f16 v15, v34, v15
	v_pk_add_f16 v16, v29, v16
	v_bfi_b32 v29, 0xffff, v33, v32
	v_pk_fma_f16 v22, 0x388b, v40, v18 op_sel:[0,0,1] op_sel_hi:[0,1,0]
	v_pk_fma_f16 v18, 0x388b, v40, v18 op_sel:[0,0,1] op_sel_hi:[0,1,0] neg_lo:[0,0,1] neg_hi:[0,0,1]
	v_pk_mul_f16 v24, 0xbb7b, v46 op_sel_hi:[0,1]
	v_pk_add_f16 v13, v17, v13
	v_bfi_b32 v17, 0xffff, v32, v33
	v_mul_f16_e32 v76, 0xb9fd, v54
	v_mul_f16_e32 v96, 0xb94e, v55
	v_add_f16_e32 v53, v59, v53
	v_sub_f16_e32 v59, v75, v112
	v_add_f16_e32 v44, v84, v67
	v_mul_f16_e32 v95, 0x388b, v54
	v_add_f16_e32 v90, v80, v90
	v_add_f16_e32 v61, v63, v61
	;; [unrolled: 1-line block ×3, first 2 shown]
	v_pk_add_f16 v15, v31, v15
	v_pk_add_f16 v16, v29, v16
	v_bfi_b32 v29, 0xffff, v22, v18
	v_pk_fma_f16 v31, 0xb5ac, v45, v24 op_sel:[0,0,1] op_sel_hi:[0,1,0]
	v_pk_fma_f16 v24, 0xb5ac, v45, v24 op_sel:[0,0,1] op_sel_hi:[0,1,0] neg_lo:[0,0,1] neg_hi:[0,0,1]
	v_pk_mul_f16 v32, 0x3bf1, v55 op_sel_hi:[0,1]
	v_pk_add_f16 v13, v17, v13
	v_bfi_b32 v17, 0xffff, v18, v22
	v_add_f16_e32 v53, v59, v53
	v_sub_f16_e32 v59, v85, v96
	v_add_f16_e32 v23, v44, v23
	v_add_f16_e32 v43, v76, v81
	v_add_f16_e32 v66, v70, v90
	v_add_f16_e32 v61, v63, v61
	v_add_f16_e32 v63, v95, v86
	v_pk_add_f16 v16, v29, v16
	v_bfi_b32 v18, 0xffff, v31, v24
	v_pk_fma_f16 v22, 0x2fb7, v54, v32 op_sel:[0,0,1] op_sel_hi:[0,1,0]
	v_pk_fma_f16 v29, 0x2fb7, v54, v32 op_sel:[0,0,1] op_sel_hi:[0,1,0] neg_lo:[0,0,1] neg_hi:[0,0,1]
	v_pk_add_f16 v13, v17, v13
	v_bfi_b32 v17, 0xffff, v24, v31
	v_bfi_b32 v35, 0xffff, v69, v68
	v_add_f16_e32 v20, v59, v53
	v_add_f16_e32 v23, v43, v23
	v_add_f16_e32 v66, v73, v66
	v_add_f16_e32 v61, v63, v61
	v_pk_add_f16 v16, v18, v16
	v_bfi_b32 v18, 0xffff, v22, v29
	v_pk_add_f16 v13, v17, v13
	v_bfi_b32 v17, 0xffff, v29, v22
	v_mad_u32_u24 v30, v3, 48, v0
	v_pk_add_f16 v15, v35, v15
	v_pack_b32_f16 v20, v23, v20
	v_pack_b32_f16 v19, v21, v19
	;; [unrolled: 1-line block ×4, first 2 shown]
	v_pk_add_f16 v16, v18, v16
	v_pk_add_f16 v13, v17, v13
	v_perm_b32 v17, v27, v8, 0x5040100
	v_perm_b32 v18, v26, v11, 0x5040100
	v_bfi_b32 v23, 0xffff, v9, v26
	v_perm_b32 v24, v25, v12, 0x5040100
	v_perm_b32 v29, v4, v10, 0x5040100
	ds_store_2addr_b32 v30, v14, v15 offset1:1
	ds_store_2addr_b32 v30, v19, v20 offset0:2 offset1:3
	ds_store_2addr_b32 v30, v22, v21 offset0:4 offset1:5
	;; [unrolled: 1-line block ×5, first 2 shown]
	ds_store_b32 v30, v29 offset:48
.LBB0_15:
	s_wait_alu 0xfffe
	s_or_b32 exec_lo, exec_lo, s1
	v_and_b32_e32 v13, 0xff, v3
	v_add_nc_u32_e32 v19, 0xb6, v3
	s_load_b64 s[2:3], s[2:3], 0x0
	global_wb scope:SCOPE_SE
	s_wait_dscnt 0x0
	s_wait_kmcnt 0x0
	s_barrier_signal -1
	v_mul_lo_u16 v24, 0x4f, v13
	v_and_b32_e32 v13, 0xffff, v19
	s_barrier_wait -1
	global_inv scope:SCOPE_SE
	ds_load_2addr_b32 v[22:23], v7 offset0:68 offset1:250
	v_lshrrev_b16 v20, 10, v24
	v_mul_u32_u24_e32 v21, 0x4ec5, v13
	v_add_nc_u32_e32 v7, 0x500, v0
	v_add_nc_u32_e32 v33, 0xb00, v0
	ds_load_2addr_b32 v[29:30], v0 offset1:182
	v_mul_lo_u16 v14, v20, 13
	v_lshrrev_b32_e32 v35, 18, v21
	v_add_nc_u32_e32 v38, 0xd00, v0
	v_cmp_gt_u32_e64 s0, 26, v3
	s_delay_alu instid0(VALU_DEP_4) | instskip(NEXT) | instid1(VALU_DEP_1)
	v_sub_nc_u16 v13, v3, v14
	v_and_b32_e32 v36, 0xff, v13
	v_mul_lo_u16 v13, v35, 13
	v_mul_u32_u24_e32 v35, 0xd0, v35
	s_wait_dscnt 0x1
	v_lshrrev_b32_e32 v39, 16, v23
	v_mul_u32_u24_e32 v14, 3, v36
	v_sub_nc_u16 v13, v19, v13
	v_lshlrev_b32_e32 v36, 2, v36
	s_wait_dscnt 0x0
	v_lshrrev_b32_e32 v40, 16, v29
	v_lshlrev_b32_e32 v14, 2, v14
	v_and_b32_e32 v37, 0xffff, v13
	v_lshrrev_b32_e32 v41, 16, v30
	global_load_b96 v[13:15], v14, s[8:9]
	v_mul_u32_u24_e32 v16, 3, v37
	v_lshlrev_b32_e32 v37, 2, v37
	s_delay_alu instid0(VALU_DEP_2) | instskip(NEXT) | instid1(VALU_DEP_2)
	v_lshlrev_b32_e32 v16, 2, v16
	v_add3_u32 v35, 0, v35, v37
	global_load_b96 v[16:18], v16, s[8:9]
	ds_load_2addr_b32 v[31:32], v7 offset0:44 offset1:226
	ds_load_2addr_b32 v[33:34], v33 offset0:24 offset1:206
	v_and_b32_e32 v7, 0xffff, v20
	v_lshrrev_b32_e32 v20, 16, v22
	global_wb scope:SCOPE_SE
	s_wait_loadcnt_dscnt 0x0
	s_barrier_signal -1
	s_barrier_wait -1
	v_mul_u32_u24_e32 v7, 0xd0, v7
	global_inv scope:SCOPE_SE
	v_add3_u32 v36, 0, v7, v36
	v_lshrrev_b32_e32 v42, 16, v31
	v_lshrrev_b32_e32 v43, 16, v33
	;; [unrolled: 1-line block ×7, first 2 shown]
	s_delay_alu instid0(VALU_DEP_3) | instskip(SKIP_1) | instid1(VALU_DEP_4)
	v_mul_f16_e32 v47, v7, v42
	v_mul_f16_e32 v7, v7, v31
	v_mul_f16_e32 v48, v37, v43
	v_mul_f16_e32 v37, v37, v33
	v_mul_f16_e32 v49, v46, v20
	v_mul_f16_e32 v46, v46, v22
	v_lshrrev_b32_e32 v50, 16, v16
	v_lshrrev_b32_e32 v51, 16, v17
	;; [unrolled: 1-line block ×3, first 2 shown]
	v_fmac_f16_e32 v47, v13, v31
	v_fma_f16 v7, v13, v42, -v7
	v_fmac_f16_e32 v48, v14, v33
	v_fma_f16 v13, v14, v43, -v37
	;; [unrolled: 2-line block ×3, first 2 shown]
	v_mul_f16_e32 v15, v50, v44
	v_mul_f16_e32 v20, v50, v32
	;; [unrolled: 1-line block ×6, first 2 shown]
	v_fmac_f16_e32 v15, v16, v32
	v_fma_f16 v16, v16, v44, -v20
	v_fmac_f16_e32 v22, v17, v34
	v_fma_f16 v17, v17, v45, -v31
	;; [unrolled: 2-line block ×3, first 2 shown]
	v_sub_f16_e32 v20, v29, v48
	v_sub_f16_e32 v13, v40, v13
	;; [unrolled: 1-line block ×8, first 2 shown]
	v_fma_f16 v29, v29, 2.0, -v20
	v_fma_f16 v31, v40, 2.0, -v13
	;; [unrolled: 1-line block ×4, first 2 shown]
	v_add_f16_e32 v14, v20, v14
	v_fma_f16 v30, v30, 2.0, -v22
	v_fma_f16 v39, v41, 2.0, -v17
	v_fma_f16 v15, v15, 2.0, -v33
	v_fma_f16 v16, v16, 2.0, -v18
	v_sub_f16_e32 v23, v13, v23
	v_sub_f16_e32 v32, v29, v32
	;; [unrolled: 1-line block ×3, first 2 shown]
	v_fma_f16 v37, v20, 2.0, -v14
	v_add_f16_e32 v7, v22, v18
	v_sub_f16_e32 v20, v17, v33
	v_sub_f16_e32 v15, v30, v15
	;; [unrolled: 1-line block ×3, first 2 shown]
	v_fma_f16 v13, v13, 2.0, -v23
	v_pack_b32_f16 v14, v14, v23
	v_fma_f16 v18, v29, 2.0, -v32
	v_fma_f16 v23, v31, 2.0, -v34
	;; [unrolled: 1-line block ×6, first 2 shown]
	v_pack_b32_f16 v29, v32, v34
	v_pack_b32_f16 v13, v37, v13
	;; [unrolled: 1-line block ×7, first 2 shown]
	ds_store_2addr_b32 v36, v29, v14 offset0:26 offset1:39
	ds_store_2addr_b32 v36, v18, v13 offset1:13
	ds_store_2addr_b32 v35, v15, v32 offset0:26 offset1:39
	ds_store_2addr_b32 v35, v16, v17 offset1:13
	global_wb scope:SCOPE_SE
	s_wait_dscnt 0x0
	s_barrier_signal -1
	s_barrier_wait -1
	global_inv scope:SCOPE_SE
	ds_load_2addr_b32 v[13:14], v0 offset1:208
	ds_load_2addr_b32 v[17:18], v28 offset0:32 offset1:240
	ds_load_2addr_b32 v[15:16], v38 offset1:208
	ds_load_b32 v28, v0 offset:4992
                                        ; implicit-def: $vgpr23
                                        ; implicit-def: $vgpr22
	s_and_saveexec_b32 s1, s0
	s_cbranch_execz .LBB0_17
; %bb.16:
	v_add_nc_u32_e32 v4, 0xf80, v0
	ds_load_2addr_b32 v[9:10], v4 offset0:22 offset1:230
	v_add_nc_u32_e32 v4, 0x280, v0
	s_wait_dscnt 0x0
	v_dual_mov_b32 v26, v9 :: v_dual_add_nc_u32 v11, 0x900, v0
	ds_load_2addr_b32 v[7:8], v4 offset0:22 offset1:230
	ds_load_2addr_b32 v[11:12], v11 offset0:22 offset1:230
	ds_load_b32 v22, v0 offset:5720
	v_lshrrev_b32_e32 v4, 16, v10
	ds_load_u16_d16 v26, v0 offset:2394
	s_wait_dscnt 0x3
	v_lshrrev_b32_e32 v20, 16, v7
	s_wait_dscnt 0x2
	v_lshrrev_b32_e32 v25, 16, v12
	;; [unrolled: 2-line block ×3, first 2 shown]
	v_lshrrev_b32_e32 v27, 16, v8
.LBB0_17:
	s_wait_alu 0xfffe
	s_or_b32 exec_lo, exec_lo, s1
	v_lshrrev_b16 v24, 12, v24
	s_wait_dscnt 0x3
	v_lshrrev_b32_e32 v36, 16, v14
	s_wait_dscnt 0x2
	v_lshrrev_b32_e32 v37, 16, v17
	;; [unrolled: 2-line block ×3, first 2 shown]
	v_lshrrev_b32_e32 v40, 16, v16
	v_mul_lo_u16 v29, v24, 52
	s_wait_dscnt 0x0
	v_lshrrev_b32_e32 v41, 16, v28
	v_lshrrev_b32_e32 v38, 16, v18
	v_and_b32_e32 v24, 0xffff, v24
	v_sub_nc_u16 v29, v3, v29
	s_delay_alu instid0(VALU_DEP_2) | instskip(NEXT) | instid1(VALU_DEP_2)
	v_mul_u32_u24_e32 v24, 0x5b0, v24
	v_and_b32_e32 v35, 0xff, v29
	s_delay_alu instid0(VALU_DEP_1) | instskip(SKIP_1) | instid1(VALU_DEP_2)
	v_mul_u32_u24_e32 v29, 6, v35
	v_lshlrev_b32_e32 v35, 2, v35
	v_lshlrev_b32_e32 v33, 2, v29
	s_delay_alu instid0(VALU_DEP_2)
	v_add3_u32 v24, 0, v24, v35
	v_lshrrev_b32_e32 v35, 16, v13
	s_clause 0x1
	global_load_b128 v[29:32], v33, s[8:9] offset:156
	global_load_b64 v[33:34], v33, s[8:9] offset:172
	v_add_nc_u32_e32 v42, 0x200, v24
	global_wb scope:SCOPE_SE
	s_wait_loadcnt 0x0
	s_barrier_signal -1
	s_barrier_wait -1
	global_inv scope:SCOPE_SE
	v_lshrrev_b32_e32 v43, 16, v29
	v_lshrrev_b32_e32 v44, 16, v30
	;; [unrolled: 1-line block ×6, first 2 shown]
	v_mul_f16_e32 v49, v43, v36
	v_mul_f16_e32 v43, v43, v14
	;; [unrolled: 1-line block ×12, first 2 shown]
	v_fmac_f16_e32 v49, v29, v14
	v_fma_f16 v14, v29, v36, -v43
	v_fmac_f16_e32 v50, v30, v17
	v_fma_f16 v17, v30, v37, -v44
	v_fmac_f16_e32 v52, v32, v15
	v_fmac_f16_e32 v54, v34, v28
	v_fma_f16 v15, v34, v41, -v48
	v_fmac_f16_e32 v53, v33, v16
	v_fma_f16 v16, v33, v40, -v47
	v_fmac_f16_e32 v51, v31, v18
	v_fma_f16 v18, v31, v38, -v45
	v_fma_f16 v28, v32, v39, -v46
	v_add_f16_e32 v29, v49, v54
	v_add_f16_e32 v30, v14, v15
	v_sub_f16_e32 v14, v14, v15
	v_add_f16_e32 v15, v50, v53
	v_add_f16_e32 v32, v17, v16
	v_sub_f16_e32 v33, v50, v53
	v_sub_f16_e32 v16, v17, v16
	v_add_f16_e32 v17, v51, v52
	v_add_f16_e32 v34, v18, v28
	v_sub_f16_e32 v36, v52, v51
	;; [unrolled: 4-line block ×3, first 2 shown]
	v_sub_f16_e32 v38, v15, v29
	v_sub_f16_e32 v39, v32, v30
	;; [unrolled: 1-line block ×6, first 2 shown]
	v_add_f16_e32 v40, v36, v33
	v_add_f16_e32 v41, v18, v16
	v_sub_f16_e32 v43, v36, v33
	v_sub_f16_e32 v44, v18, v16
	v_sub_f16_e32 v16, v16, v14
	v_add_f16_e32 v17, v17, v28
	v_add_f16_e32 v28, v34, v37
	v_sub_f16_e32 v33, v33, v31
	v_sub_f16_e32 v36, v31, v36
	v_sub_f16_e32 v18, v14, v18
	v_add_f16_e32 v31, v40, v31
	v_add_f16_e32 v14, v41, v14
	v_mul_f16_e32 v29, 0x3a52, v29
	v_mul_f16_e32 v30, 0x3a52, v30
	;; [unrolled: 1-line block ×7, first 2 shown]
	v_add_f16_e32 v13, v17, v13
	v_add_f16_e32 v35, v28, v35
	v_mul_f16_e32 v43, 0xbb00, v33
	v_fmamk_f16 v15, v15, 0x2b26, v29
	v_fmamk_f16 v32, v32, 0x2b26, v30
	v_fma_f16 v34, v38, 0x39e0, -v34
	v_fma_f16 v37, v39, 0x39e0, -v37
	;; [unrolled: 1-line block ×4, first 2 shown]
	v_fmamk_f16 v38, v36, 0xb574, v40
	v_fmamk_f16 v39, v18, 0xb574, v41
	v_fma_f16 v16, v16, 0xbb00, -v41
	v_fma_f16 v18, v18, 0x3574, -v44
	v_fmamk_f16 v17, v17, 0xbcab, v13
	v_fmamk_f16 v28, v28, 0xbcab, v35
	v_fma_f16 v33, v33, 0xbb00, -v40
	v_fma_f16 v36, v36, 0x3574, -v43
	v_fmac_f16_e32 v38, 0xb70e, v31
	v_fmac_f16_e32 v39, 0xb70e, v14
	;; [unrolled: 1-line block ×4, first 2 shown]
	v_add_f16_e32 v14, v15, v17
	v_add_f16_e32 v15, v32, v28
	v_fmac_f16_e32 v33, 0xb70e, v31
	v_fmac_f16_e32 v36, 0xb70e, v31
	v_add_f16_e32 v31, v34, v17
	v_add_f16_e32 v17, v29, v17
	;; [unrolled: 1-line block ×5, first 2 shown]
	v_sub_f16_e32 v32, v15, v38
	v_pack_b32_f16 v13, v13, v35
	v_add_f16_e32 v34, v18, v17
	v_sub_f16_e32 v35, v29, v36
	v_sub_f16_e32 v37, v31, v16
	v_add_f16_e32 v40, v33, v28
	v_add_f16_e32 v16, v16, v31
	v_sub_f16_e32 v28, v28, v33
	v_sub_f16_e32 v17, v17, v18
	v_add_f16_e32 v18, v36, v29
	v_sub_f16_e32 v14, v14, v39
	v_add_f16_e32 v15, v38, v15
	v_pack_b32_f16 v29, v30, v32
	v_pack_b32_f16 v30, v34, v35
	v_pack_b32_f16 v31, v37, v40
	v_pack_b32_f16 v16, v16, v28
	v_pack_b32_f16 v17, v17, v18
	v_pack_b32_f16 v14, v14, v15
	ds_store_2addr_b32 v24, v13, v29 offset1:52
	ds_store_2addr_b32 v24, v30, v31 offset0:104 offset1:156
	ds_store_2addr_b32 v42, v16, v17 offset0:80 offset1:132
	ds_store_b32 v24, v14 offset:1248
	s_and_saveexec_b32 s1, s0
	s_cbranch_execz .LBB0_19
; %bb.18:
	v_lshrrev_b32_e32 v13, 20, v21
	v_lshrrev_b32_e32 v21, 16, v26
	s_delay_alu instid0(VALU_DEP_2) | instskip(NEXT) | instid1(VALU_DEP_1)
	v_mul_lo_u16 v13, v13, 52
	v_sub_nc_u16 v13, v19, v13
	s_delay_alu instid0(VALU_DEP_1) | instskip(NEXT) | instid1(VALU_DEP_1)
	v_and_b32_e32 v19, 0xffff, v13
	v_mul_u32_u24_e32 v13, 6, v19
	v_lshl_add_u32 v19, v19, 2, 0
	s_delay_alu instid0(VALU_DEP_2) | instskip(NEXT) | instid1(VALU_DEP_2)
	v_lshlrev_b32_e32 v17, 2, v13
	v_add_nc_u32_e32 v24, 0x1000, v19
	v_add_nc_u32_e32 v28, 0x1400, v19
	s_clause 0x1
	global_load_b128 v[13:16], v17, s[8:9] offset:156
	global_load_b64 v[17:18], v17, s[8:9] offset:172
	s_wait_loadcnt 0x1
	v_lshrrev_b32_e32 v29, 16, v13
	v_lshrrev_b32_e32 v30, 16, v14
	s_wait_loadcnt 0x0
	v_lshrrev_b32_e32 v31, 16, v18
	v_lshrrev_b32_e32 v32, 16, v16
	;; [unrolled: 1-line block ×4, first 2 shown]
	v_mul_f16_e32 v35, v27, v29
	v_mul_f16_e32 v36, v23, v31
	;; [unrolled: 1-line block ×12, first 2 shown]
	v_fmac_f16_e32 v35, v8, v13
	v_fmac_f16_e32 v36, v22, v18
	;; [unrolled: 1-line block ×6, first 2 shown]
	v_fma_f16 v8, v23, v18, -v31
	v_fma_f16 v9, v27, v13, -v29
	;; [unrolled: 1-line block ×6, first 2 shown]
	v_add_f16_e32 v16, v9, v8
	v_add_f16_e32 v21, v35, v36
	;; [unrolled: 1-line block ×4, first 2 shown]
	v_sub_f16_e32 v13, v35, v36
	v_sub_f16_e32 v14, v37, v38
	;; [unrolled: 1-line block ×3, first 2 shown]
	v_add_f16_e32 v17, v10, v11
	v_add_f16_e32 v22, v38, v37
	v_sub_f16_e32 v8, v9, v8
	v_sub_f16_e32 v9, v11, v10
	;; [unrolled: 1-line block ×3, first 2 shown]
	v_add_f16_e32 v26, v18, v16
	v_add_f16_e32 v30, v23, v21
	v_sub_f16_e32 v10, v13, v14
	v_sub_f16_e32 v11, v14, v15
	v_add_f16_e32 v12, v14, v15
	v_sub_f16_e32 v14, v16, v17
	v_sub_f16_e32 v25, v17, v18
	;; [unrolled: 1-line block ×6, first 2 shown]
	v_add_f16_e32 v9, v9, v4
	v_sub_f16_e32 v15, v15, v13
	v_sub_f16_e32 v4, v4, v8
	v_add_f16_e32 v17, v17, v26
	v_add_f16_e32 v22, v22, v30
	v_sub_f16_e32 v16, v18, v16
	v_sub_f16_e32 v18, v23, v21
	v_mul_f16_e32 v11, 0x3846, v11
	v_add_f16_e32 v12, v12, v13
	v_mul_f16_e32 v13, 0x3a52, v14
	v_mul_f16_e32 v14, 0x2b26, v25
	;; [unrolled: 1-line block ×4, first 2 shown]
	v_add_f16_e32 v8, v9, v8
	v_mul_f16_e32 v9, 0xbb00, v15
	v_mul_f16_e32 v27, 0xbb00, v4
	v_add_f16_e32 v20, v20, v17
	v_add_f16_e32 v7, v7, v22
	v_mul_f16_e32 v23, 0x2b26, v29
	v_fmamk_f16 v30, v10, 0xb574, v11
	v_fmamk_f16 v25, v25, 0x2b26, v13
	;; [unrolled: 1-line block ×4, first 2 shown]
	v_fma_f16 v9, v10, 0x3574, -v9
	v_fma_f16 v10, v16, 0xb9e0, -v13
	;; [unrolled: 1-line block ×7, first 2 shown]
	v_fmamk_f16 v16, v17, 0xbcab, v20
	v_fmamk_f16 v17, v22, 0xbcab, v7
	v_fma_f16 v15, v18, 0x39e0, -v23
	v_fmac_f16_e32 v30, 0xb70e, v12
	v_fmac_f16_e32 v32, 0xb70e, v8
	;; [unrolled: 1-line block ×6, first 2 shown]
	v_add_f16_e32 v8, v25, v16
	v_add_f16_e32 v12, v29, v17
	;; [unrolled: 1-line block ×8, first 2 shown]
	v_sub_f16_e32 v9, v10, v9
	v_sub_f16_e32 v8, v8, v30
	v_add_f16_e32 v10, v32, v12
	v_pack_b32_f16 v7, v7, v20
	v_sub_f16_e32 v17, v12, v32
	v_sub_f16_e32 v20, v14, v11
	v_add_f16_e32 v11, v11, v14
	v_add_f16_e32 v12, v21, v13
	v_sub_f16_e32 v14, v15, v4
	v_add_f16_e32 v4, v4, v15
	v_sub_f16_e32 v13, v13, v21
	v_pack_b32_f16 v8, v10, v8
	v_pack_b32_f16 v9, v12, v9
	v_pack_b32_f16 v10, v14, v11
	v_pack_b32_f16 v4, v4, v20
	v_pack_b32_f16 v11, v13, v18
	v_pack_b32_f16 v12, v17, v16
	ds_store_2addr_b32 v24, v7, v8 offset0:68 offset1:120
	ds_store_2addr_b32 v24, v9, v10 offset0:172 offset1:224
	;; [unrolled: 1-line block ×3, first 2 shown]
	ds_store_b32 v19, v12 offset:5616
.LBB0_19:
	s_wait_alu 0xfffe
	s_or_b32 exec_lo, exec_lo, s1
	v_dual_mov_b32 v4, 0 :: v_dual_add_nc_u32 v21, 0x1000, v0
	global_wb scope:SCOPE_SE
	s_wait_dscnt 0x0
	s_barrier_signal -1
	s_barrier_wait -1
	v_lshlrev_b64_e32 v[7:8], 2, v[3:4]
	global_inv scope:SCOPE_SE
	v_add_nc_u32_e32 v20, 0xb00, v0
	v_add_nc_u32_e32 v22, 0x500, v0
	v_add_co_u32 v9, s0, s8, v7
	s_wait_alu 0xf1ff
	v_add_co_ci_u32_e64 v10, s0, s9, v8, s0
	v_cmp_ne_u32_e64 s0, 0, v3
	s_clause 0x1
	global_load_b32 v4, v[9:10], off offset:1404
	global_load_b32 v19, v[9:10], off offset:2132
	ds_load_2addr_b32 v[11:12], v20 offset0:24 offset1:206
	ds_load_2addr_b32 v[13:14], v21 offset0:68 offset1:250
	ds_load_2addr_b32 v[15:16], v0 offset1:182
	ds_load_2addr_b32 v[17:18], v22 offset0:44 offset1:226
	global_wb scope:SCOPE_SE
	s_wait_loadcnt_dscnt 0x0
	s_barrier_signal -1
	s_barrier_wait -1
	global_inv scope:SCOPE_SE
	v_pk_mul_f16 v23, v4, v11 op_sel:[0,1]
	v_pk_mul_f16 v24, v19, v12 op_sel:[0,1]
	;; [unrolled: 1-line block ×4, first 2 shown]
	s_delay_alu instid0(VALU_DEP_4)
	v_pk_fma_f16 v27, v4, v11, v23 op_sel:[0,0,1] op_sel_hi:[1,1,0]
	v_pk_fma_f16 v11, v4, v11, v23 op_sel:[0,0,1] op_sel_hi:[1,0,0] neg_lo:[1,0,0] neg_hi:[1,0,0]
	v_pk_fma_f16 v23, v19, v12, v24 op_sel:[0,0,1] op_sel_hi:[1,1,0]
	v_pk_fma_f16 v12, v19, v12, v24 op_sel:[0,0,1] op_sel_hi:[1,0,0] neg_lo:[1,0,0] neg_hi:[1,0,0]
	;; [unrolled: 2-line block ×4, first 2 shown]
	v_bfi_b32 v11, 0xffff, v27, v11
	v_bfi_b32 v12, 0xffff, v23, v12
	;; [unrolled: 1-line block ×3, first 2 shown]
	s_delay_alu instid0(VALU_DEP_4) | instskip(NEXT) | instid1(VALU_DEP_4)
	v_bfi_b32 v13, 0xffff, v13, v14
	v_pk_add_f16 v11, v15, v11 neg_lo:[0,1] neg_hi:[0,1]
	s_delay_alu instid0(VALU_DEP_4) | instskip(NEXT) | instid1(VALU_DEP_4)
	v_pk_add_f16 v12, v16, v12 neg_lo:[0,1] neg_hi:[0,1]
	v_pk_add_f16 v4, v17, v4 neg_lo:[0,1] neg_hi:[0,1]
	s_delay_alu instid0(VALU_DEP_4) | instskip(NEXT) | instid1(VALU_DEP_4)
	v_pk_add_f16 v13, v18, v13 neg_lo:[0,1] neg_hi:[0,1]
	v_pk_fma_f16 v14, v15, 2.0, v11 op_sel_hi:[1,0,1] neg_lo:[0,0,1] neg_hi:[0,0,1]
	s_delay_alu instid0(VALU_DEP_4) | instskip(NEXT) | instid1(VALU_DEP_4)
	v_pk_fma_f16 v15, v16, 2.0, v12 op_sel_hi:[1,0,1] neg_lo:[0,0,1] neg_hi:[0,0,1]
	v_pk_fma_f16 v16, v17, 2.0, v4 op_sel_hi:[1,0,1] neg_lo:[0,0,1] neg_hi:[0,0,1]
	s_delay_alu instid0(VALU_DEP_4)
	v_pk_fma_f16 v17, v18, 2.0, v13 op_sel_hi:[1,0,1] neg_lo:[0,0,1] neg_hi:[0,0,1]
	ds_store_2addr_b32 v22, v11, v12 offset0:44 offset1:226
	ds_store_2addr_b32 v21, v4, v13 offset0:68 offset1:250
	ds_store_2addr_b32 v0, v14, v15 offset1:182
	ds_store_2addr_b32 v20, v16, v17 offset0:24 offset1:206
	global_wb scope:SCOPE_SE
	s_wait_dscnt 0x0
	s_barrier_signal -1
	s_barrier_wait -1
	global_inv scope:SCOPE_SE
	s_clause 0x3
	global_load_b32 v4, v[9:10], off offset:2860
	global_load_b32 v19, v[9:10], off offset:3588
	global_load_b32 v23, v[9:10], off offset:4316
	global_load_b32 v24, v[9:10], off offset:5044
	ds_load_2addr_b32 v[11:12], v20 offset0:24 offset1:206
	ds_load_2addr_b32 v[13:14], v21 offset0:68 offset1:250
	ds_load_2addr_b32 v[15:16], v0 offset1:182
	ds_load_2addr_b32 v[17:18], v22 offset0:44 offset1:226
	global_wb scope:SCOPE_SE
	s_wait_loadcnt_dscnt 0x0
	s_barrier_signal -1
	s_barrier_wait -1
	global_inv scope:SCOPE_SE
	v_pk_mul_f16 v25, v4, v11 op_sel:[0,1]
	v_pk_mul_f16 v26, v19, v12 op_sel:[0,1]
	;; [unrolled: 1-line block ×4, first 2 shown]
	s_delay_alu instid0(VALU_DEP_4)
	v_pk_fma_f16 v29, v4, v11, v25 op_sel:[0,0,1] op_sel_hi:[1,1,0]
	v_pk_fma_f16 v4, v4, v11, v25 op_sel:[0,0,1] op_sel_hi:[1,0,0] neg_lo:[1,0,0] neg_hi:[1,0,0]
	v_pk_fma_f16 v11, v19, v12, v26 op_sel:[0,0,1] op_sel_hi:[1,1,0]
	v_pk_fma_f16 v12, v19, v12, v26 op_sel:[0,0,1] op_sel_hi:[1,0,0] neg_lo:[1,0,0] neg_hi:[1,0,0]
	;; [unrolled: 2-line block ×4, first 2 shown]
	v_bfi_b32 v4, 0xffff, v29, v4
	v_bfi_b32 v11, 0xffff, v11, v12
	v_bfi_b32 v12, 0xffff, v19, v13
	s_delay_alu instid0(VALU_DEP_4) | instskip(NEXT) | instid1(VALU_DEP_4)
	v_bfi_b32 v13, 0xffff, v23, v14
	v_pk_add_f16 v4, v15, v4 neg_lo:[0,1] neg_hi:[0,1]
	s_delay_alu instid0(VALU_DEP_4) | instskip(NEXT) | instid1(VALU_DEP_4)
	v_pk_add_f16 v11, v16, v11 neg_lo:[0,1] neg_hi:[0,1]
	v_pk_add_f16 v12, v17, v12 neg_lo:[0,1] neg_hi:[0,1]
	s_delay_alu instid0(VALU_DEP_4) | instskip(NEXT) | instid1(VALU_DEP_4)
	v_pk_add_f16 v13, v18, v13 neg_lo:[0,1] neg_hi:[0,1]
	v_pk_fma_f16 v14, v15, 2.0, v4 op_sel_hi:[1,0,1] neg_lo:[0,0,1] neg_hi:[0,0,1]
	s_delay_alu instid0(VALU_DEP_4) | instskip(NEXT) | instid1(VALU_DEP_4)
	v_pk_fma_f16 v15, v16, 2.0, v11 op_sel_hi:[1,0,1] neg_lo:[0,0,1] neg_hi:[0,0,1]
	v_pk_fma_f16 v16, v17, 2.0, v12 op_sel_hi:[1,0,1] neg_lo:[0,0,1] neg_hi:[0,0,1]
	s_delay_alu instid0(VALU_DEP_4)
	v_pk_fma_f16 v17, v18, 2.0, v13 op_sel_hi:[1,0,1] neg_lo:[0,0,1] neg_hi:[0,0,1]
	ds_store_2addr_b32 v20, v4, v11 offset0:24 offset1:206
	ds_store_2addr_b32 v21, v12, v13 offset0:68 offset1:250
	ds_store_2addr_b32 v0, v14, v15 offset1:182
	ds_store_2addr_b32 v22, v16, v17 offset0:44 offset1:226
	global_wb scope:SCOPE_SE
	s_wait_dscnt 0x0
	s_barrier_signal -1
	s_barrier_wait -1
	global_inv scope:SCOPE_SE
	ds_load_b32 v14, v0
	v_lshlrev_b32_e32 v4, 2, v3
                                        ; implicit-def: $vgpr13
                                        ; implicit-def: $vgpr12
                                        ; implicit-def: $vgpr11
	s_delay_alu instid0(VALU_DEP_1)
	v_sub_nc_u32_e32 v4, 0, v4
	s_and_saveexec_b32 s1, s0
	s_wait_alu 0xfffe
	s_xor_b32 s0, exec_lo, s1
	s_cbranch_execz .LBB0_21
; %bb.20:
	global_load_b32 v9, v[9:10], off offset:5772
	ds_load_b32 v10, v4 offset:5824
	s_wait_dscnt 0x0
	v_pk_add_f16 v11, v14, v10 neg_lo:[0,1] neg_hi:[0,1]
	v_pk_add_f16 v10, v10, v14
	s_delay_alu instid0(VALU_DEP_1) | instskip(SKIP_1) | instid1(VALU_DEP_2)
	v_bfi_b32 v12, 0xffff, v11, v10
	v_bfi_b32 v10, 0xffff, v10, v11
	v_pk_mul_f16 v12, v12, 0.5 op_sel_hi:[1,0]
	s_delay_alu instid0(VALU_DEP_2) | instskip(SKIP_1) | instid1(VALU_DEP_2)
	v_pk_mul_f16 v13, v10, 0.5 op_sel_hi:[1,0]
	s_wait_loadcnt 0x0
	v_pk_mul_f16 v11, v9, v12 op_sel:[1,0]
	v_pk_mul_f16 v9, v9, v12 op_sel_hi:[0,1]
	s_delay_alu instid0(VALU_DEP_3) | instskip(NEXT) | instid1(VALU_DEP_3)
	v_lshrrev_b32_e32 v12, 16, v13
	v_pk_fma_f16 v10, v10, 0.5, v11 op_sel_hi:[1,0,1]
	v_lshrrev_b32_e32 v14, 16, v11
	v_sub_f16_e32 v11, v13, v11
	v_lshrrev_b32_e32 v13, 16, v9
	s_delay_alu instid0(VALU_DEP_4) | instskip(SKIP_2) | instid1(VALU_DEP_4)
	v_pk_add_f16 v15, v10, v9 op_sel:[0,1] op_sel_hi:[1,0]
	v_pk_add_f16 v10, v10, v9 op_sel:[0,1] op_sel_hi:[1,0] neg_lo:[0,1] neg_hi:[0,1]
	v_sub_f16_e32 v14, v14, v12
	v_sub_f16_e32 v12, v11, v13
	s_delay_alu instid0(VALU_DEP_3) | instskip(NEXT) | instid1(VALU_DEP_3)
	v_bfi_b32 v13, 0xffff, v15, v10
	v_sub_f16_e32 v11, v14, v9
                                        ; implicit-def: $vgpr14
.LBB0_21:
	s_wait_alu 0xfffe
	s_and_not1_saveexec_b32 s0, s0
	s_cbranch_execz .LBB0_23
; %bb.22:
	v_mov_b32_e32 v11, 0
	s_wait_dscnt 0x0
	s_wait_alu 0xfffe
	v_alignbit_b32 v10, s0, v14, 16
	v_lshrrev_b32_e32 v12, 16, v14
	ds_load_u16 v9, v11 offset:2914
	v_pk_add_f16 v10, v10, v14
	v_sub_f16_e32 v12, v14, v12
	s_delay_alu instid0(VALU_DEP_2)
	v_pack_b32_f16 v13, v10, 0
	s_wait_dscnt 0x0
	v_xor_b32_e32 v9, 0x8000, v9
	ds_store_b16 v11, v9 offset:2914
.LBB0_23:
	s_wait_alu 0xfffe
	s_or_b32 exec_lo, exec_lo, s0
	s_add_nc_u64 s[0:1], s[8:9], 0x168c
	s_wait_alu 0xfffe
	v_add_co_u32 v7, s0, s0, v7
	s_wait_alu 0xf1ff
	v_add_co_ci_u32_e64 v8, s0, s1, v8, s0
	s_clause 0x2
	global_load_b32 v9, v[7:8], off offset:728
	global_load_b32 v10, v[7:8], off offset:1456
	;; [unrolled: 1-line block ×3, first 2 shown]
	ds_store_b16 v4, v11 offset:5826
	ds_store_b32 v0, v13
	ds_store_b16 v4, v12 offset:5824
	ds_load_b32 v8, v0 offset:728
	ds_load_b32 v11, v4 offset:5096
	s_wait_dscnt 0x0
	v_pk_add_f16 v12, v8, v11 neg_lo:[0,1] neg_hi:[0,1]
	v_pk_add_f16 v8, v8, v11
	s_delay_alu instid0(VALU_DEP_1) | instskip(SKIP_1) | instid1(VALU_DEP_2)
	v_bfi_b32 v11, 0xffff, v12, v8
	v_bfi_b32 v8, 0xffff, v8, v12
	v_pk_mul_f16 v11, v11, 0.5 op_sel_hi:[1,0]
	s_delay_alu instid0(VALU_DEP_2) | instskip(SKIP_1) | instid1(VALU_DEP_1)
	v_pk_mul_f16 v8, v8, 0.5 op_sel_hi:[1,0]
	s_wait_loadcnt 0x2
	v_pk_fma_f16 v12, v9, v11, v8 op_sel:[1,0,0]
	v_pk_mul_f16 v13, v9, v11 op_sel_hi:[0,1]
	v_pk_fma_f16 v14, v9, v11, v8 op_sel:[1,0,0] neg_lo:[1,0,0] neg_hi:[1,0,0]
	v_pk_fma_f16 v8, v9, v11, v8 op_sel:[1,0,0] neg_lo:[0,0,1] neg_hi:[0,0,1]
	s_delay_alu instid0(VALU_DEP_3) | instskip(SKIP_1) | instid1(VALU_DEP_4)
	v_pk_add_f16 v9, v12, v13 op_sel:[0,1] op_sel_hi:[1,0]
	v_pk_add_f16 v11, v12, v13 op_sel:[0,1] op_sel_hi:[1,0] neg_lo:[0,1] neg_hi:[0,1]
	v_pk_add_f16 v12, v14, v13 op_sel:[0,1] op_sel_hi:[1,0] neg_lo:[0,1] neg_hi:[0,1]
	s_delay_alu instid0(VALU_DEP_4) | instskip(NEXT) | instid1(VALU_DEP_3)
	v_pk_add_f16 v8, v8, v13 op_sel:[0,1] op_sel_hi:[1,0] neg_lo:[0,1] neg_hi:[0,1]
	v_bfi_b32 v9, 0xffff, v9, v11
	s_delay_alu instid0(VALU_DEP_2)
	v_bfi_b32 v8, 0xffff, v12, v8
	ds_store_b32 v0, v9 offset:728
	ds_store_b32 v4, v8 offset:5096
	ds_load_b32 v8, v0 offset:1456
	ds_load_b32 v9, v4 offset:4368
	s_wait_dscnt 0x0
	v_pk_add_f16 v11, v8, v9 neg_lo:[0,1] neg_hi:[0,1]
	v_pk_add_f16 v8, v8, v9
	s_delay_alu instid0(VALU_DEP_1) | instskip(SKIP_1) | instid1(VALU_DEP_2)
	v_bfi_b32 v9, 0xffff, v11, v8
	v_bfi_b32 v8, 0xffff, v8, v11
	v_pk_mul_f16 v9, v9, 0.5 op_sel_hi:[1,0]
	s_delay_alu instid0(VALU_DEP_2) | instskip(SKIP_1) | instid1(VALU_DEP_2)
	v_pk_mul_f16 v8, v8, 0.5 op_sel_hi:[1,0]
	s_wait_loadcnt 0x1
	v_pk_mul_f16 v12, v10, v9 op_sel_hi:[0,1]
	s_delay_alu instid0(VALU_DEP_2) | instskip(SKIP_2) | instid1(VALU_DEP_3)
	v_pk_fma_f16 v11, v10, v9, v8 op_sel:[1,0,0]
	v_pk_fma_f16 v13, v10, v9, v8 op_sel:[1,0,0] neg_lo:[1,0,0] neg_hi:[1,0,0]
	v_pk_fma_f16 v8, v10, v9, v8 op_sel:[1,0,0] neg_lo:[0,0,1] neg_hi:[0,0,1]
	v_pk_add_f16 v9, v11, v12 op_sel:[0,1] op_sel_hi:[1,0]
	v_pk_add_f16 v10, v11, v12 op_sel:[0,1] op_sel_hi:[1,0] neg_lo:[0,1] neg_hi:[0,1]
	s_delay_alu instid0(VALU_DEP_4) | instskip(NEXT) | instid1(VALU_DEP_4)
	v_pk_add_f16 v11, v13, v12 op_sel:[0,1] op_sel_hi:[1,0] neg_lo:[0,1] neg_hi:[0,1]
	v_pk_add_f16 v8, v8, v12 op_sel:[0,1] op_sel_hi:[1,0] neg_lo:[0,1] neg_hi:[0,1]
	s_delay_alu instid0(VALU_DEP_3) | instskip(NEXT) | instid1(VALU_DEP_2)
	v_bfi_b32 v9, 0xffff, v9, v10
	v_bfi_b32 v8, 0xffff, v11, v8
	ds_store_b32 v0, v9 offset:1456
	ds_store_b32 v4, v8 offset:4368
	ds_load_b32 v8, v0 offset:2184
	ds_load_b32 v9, v4 offset:3640
	s_wait_dscnt 0x0
	v_pk_add_f16 v10, v8, v9 neg_lo:[0,1] neg_hi:[0,1]
	v_pk_add_f16 v8, v8, v9
	s_delay_alu instid0(VALU_DEP_1) | instskip(SKIP_1) | instid1(VALU_DEP_2)
	v_bfi_b32 v9, 0xffff, v10, v8
	v_bfi_b32 v8, 0xffff, v8, v10
	v_pk_mul_f16 v9, v9, 0.5 op_sel_hi:[1,0]
	s_delay_alu instid0(VALU_DEP_2) | instskip(SKIP_1) | instid1(VALU_DEP_2)
	v_pk_mul_f16 v8, v8, 0.5 op_sel_hi:[1,0]
	s_wait_loadcnt 0x0
	v_pk_mul_f16 v11, v7, v9 op_sel_hi:[0,1]
	s_delay_alu instid0(VALU_DEP_2) | instskip(SKIP_2) | instid1(VALU_DEP_3)
	v_pk_fma_f16 v10, v7, v9, v8 op_sel:[1,0,0]
	v_pk_fma_f16 v12, v7, v9, v8 op_sel:[1,0,0] neg_lo:[1,0,0] neg_hi:[1,0,0]
	v_pk_fma_f16 v7, v7, v9, v8 op_sel:[1,0,0] neg_lo:[0,0,1] neg_hi:[0,0,1]
	v_pk_add_f16 v8, v10, v11 op_sel:[0,1] op_sel_hi:[1,0]
	v_pk_add_f16 v9, v10, v11 op_sel:[0,1] op_sel_hi:[1,0] neg_lo:[0,1] neg_hi:[0,1]
	s_delay_alu instid0(VALU_DEP_4) | instskip(NEXT) | instid1(VALU_DEP_4)
	v_pk_add_f16 v10, v12, v11 op_sel:[0,1] op_sel_hi:[1,0] neg_lo:[0,1] neg_hi:[0,1]
	v_pk_add_f16 v7, v7, v11 op_sel:[0,1] op_sel_hi:[1,0] neg_lo:[0,1] neg_hi:[0,1]
	s_delay_alu instid0(VALU_DEP_3) | instskip(NEXT) | instid1(VALU_DEP_2)
	v_bfi_b32 v8, 0xffff, v8, v9
	v_bfi_b32 v7, 0xffff, v10, v7
	ds_store_b32 v0, v8 offset:2184
	ds_store_b32 v4, v7 offset:3640
	global_wb scope:SCOPE_SE
	s_wait_dscnt 0x0
	s_barrier_signal -1
	s_barrier_wait -1
	global_inv scope:SCOPE_SE
	s_and_saveexec_b32 s0, vcc_lo
	s_cbranch_execz .LBB0_26
; %bb.24:
	v_mul_lo_u32 v0, s3, v5
	v_mul_lo_u32 v7, s2, v6
	v_mad_co_u64_u32 v[5:6], null, s2, v5, 0
	v_mov_b32_e32 v4, 0
	v_lshl_add_u32 v25, v3, 2, 0
	v_add_nc_u32_e32 v21, 0x38e, v3
	v_add_nc_u32_e32 v23, 0x444, v3
	v_add_nc_u32_e32 v27, 0x4fa, v3
	v_add_nc_u32_e32 v17, 0x2d8, v3
	v_add3_u32 v6, v6, v7, v0
	v_add_nc_u32_e32 v7, 0xb6, v3
	v_lshlrev_b64_e32 v[0:1], 2, v[1:2]
	v_lshlrev_b64_e32 v[13:14], 2, v[3:4]
	v_dual_mov_b32 v8, v4 :: v_dual_add_nc_u32 v9, 0x16c, v3
	v_lshlrev_b64_e32 v[5:6], 2, v[5:6]
	v_mov_b32_e32 v10, v4
	v_add_nc_u32_e32 v2, 0x500, v25
	v_mov_b32_e32 v18, v4
	v_mov_b32_e32 v22, v4
	;; [unrolled: 1-line block ×3, first 2 shown]
	v_add_co_u32 v15, vcc_lo, s6, v5
	s_wait_alu 0xfffd
	v_add_co_ci_u32_e32 v16, vcc_lo, s7, v6, vcc_lo
	v_lshlrev_b64_e32 v[5:6], 2, v[7:8]
	s_delay_alu instid0(VALU_DEP_3) | instskip(SKIP_1) | instid1(VALU_DEP_3)
	v_add_co_u32 v0, vcc_lo, v15, v0
	s_wait_alu 0xfffd
	v_add_co_ci_u32_e32 v1, vcc_lo, v16, v1, vcc_lo
	v_lshlrev_b64_e32 v[7:8], 2, v[9:10]
	s_delay_alu instid0(VALU_DEP_3) | instskip(SKIP_1) | instid1(VALU_DEP_3)
	v_add_co_u32 v9, vcc_lo, v0, v13
	s_wait_alu 0xfffd
	v_add_co_ci_u32_e32 v10, vcc_lo, v1, v14, vcc_lo
	v_dual_mov_b32 v14, v4 :: v_dual_add_nc_u32 v13, 0x222, v3
	v_add_co_u32 v5, vcc_lo, v0, v5
	s_wait_alu 0xfffd
	v_add_co_ci_u32_e32 v6, vcc_lo, v1, v6, vcc_lo
	s_delay_alu instid0(VALU_DEP_3)
	v_lshlrev_b64_e32 v[13:14], 2, v[13:14]
	ds_load_2addr_b32 v[15:16], v2 offset0:44 offset1:226
	v_add_nc_u32_e32 v2, 0xb00, v25
	v_add_co_u32 v7, vcc_lo, v0, v7
	v_lshlrev_b64_e32 v[17:18], 2, v[17:18]
	s_wait_alu 0xfffd
	v_add_co_ci_u32_e32 v8, vcc_lo, v1, v8, vcc_lo
	ds_load_2addr_b32 v[11:12], v25 offset1:182
	v_add_co_u32 v13, vcc_lo, v0, v13
	v_lshlrev_b64_e32 v[21:22], 2, v[21:22]
	ds_load_2addr_b32 v[19:20], v2 offset0:24 offset1:206
	v_add_nc_u32_e32 v2, 0x1000, v25
	v_mov_b32_e32 v28, v4
	s_wait_alu 0xfffd
	v_add_co_ci_u32_e32 v14, vcc_lo, v1, v14, vcc_lo
	v_add_co_u32 v17, vcc_lo, v0, v17
	v_lshlrev_b64_e32 v[23:24], 2, v[23:24]
	s_wait_alu 0xfffd
	v_add_co_ci_u32_e32 v18, vcc_lo, v1, v18, vcc_lo
	ds_load_2addr_b32 v[25:26], v2 offset0:68 offset1:250
	v_add_co_u32 v21, vcc_lo, v0, v21
	v_lshlrev_b64_e32 v[27:28], 2, v[27:28]
	s_wait_alu 0xfffd
	v_add_co_ci_u32_e32 v22, vcc_lo, v1, v22, vcc_lo
	v_add_co_u32 v23, vcc_lo, v0, v23
	s_wait_alu 0xfffd
	v_add_co_ci_u32_e32 v24, vcc_lo, v1, v24, vcc_lo
	v_add_co_u32 v27, vcc_lo, v0, v27
	s_wait_alu 0xfffd
	v_add_co_ci_u32_e32 v28, vcc_lo, v1, v28, vcc_lo
	v_cmp_eq_u32_e32 vcc_lo, 0xb5, v3
	s_wait_dscnt 0x2
	s_clause 0x3
	global_store_b32 v[9:10], v11, off
	global_store_b32 v[5:6], v12, off
	;; [unrolled: 1-line block ×4, first 2 shown]
	s_wait_dscnt 0x1
	s_clause 0x1
	global_store_b32 v[17:18], v19, off
	global_store_b32 v[21:22], v20, off
	s_wait_dscnt 0x0
	s_clause 0x1
	global_store_b32 v[23:24], v25, off
	global_store_b32 v[27:28], v26, off
	s_and_b32 exec_lo, exec_lo, vcc_lo
	s_cbranch_execz .LBB0_26
; %bb.25:
	ds_load_b32 v2, v4 offset:5824
	s_wait_dscnt 0x0
	global_store_b32 v[0:1], v2, off offset:5824
.LBB0_26:
	s_nop 0
	s_sendmsg sendmsg(MSG_DEALLOC_VGPRS)
	s_endpgm
	.section	.rodata,"a",@progbits
	.p2align	6, 0x0
	.amdhsa_kernel fft_rtc_back_len1456_factors_13_4_7_2_2_wgs_182_tpt_182_halfLds_half_op_CI_CI_unitstride_sbrr_R2C_dirReg
		.amdhsa_group_segment_fixed_size 0
		.amdhsa_private_segment_fixed_size 0
		.amdhsa_kernarg_size 104
		.amdhsa_user_sgpr_count 2
		.amdhsa_user_sgpr_dispatch_ptr 0
		.amdhsa_user_sgpr_queue_ptr 0
		.amdhsa_user_sgpr_kernarg_segment_ptr 1
		.amdhsa_user_sgpr_dispatch_id 0
		.amdhsa_user_sgpr_private_segment_size 0
		.amdhsa_wavefront_size32 1
		.amdhsa_uses_dynamic_stack 0
		.amdhsa_enable_private_segment 0
		.amdhsa_system_sgpr_workgroup_id_x 1
		.amdhsa_system_sgpr_workgroup_id_y 0
		.amdhsa_system_sgpr_workgroup_id_z 0
		.amdhsa_system_sgpr_workgroup_info 0
		.amdhsa_system_vgpr_workitem_id 0
		.amdhsa_next_free_vgpr 113
		.amdhsa_next_free_sgpr 39
		.amdhsa_reserve_vcc 1
		.amdhsa_float_round_mode_32 0
		.amdhsa_float_round_mode_16_64 0
		.amdhsa_float_denorm_mode_32 3
		.amdhsa_float_denorm_mode_16_64 3
		.amdhsa_fp16_overflow 0
		.amdhsa_workgroup_processor_mode 1
		.amdhsa_memory_ordered 1
		.amdhsa_forward_progress 0
		.amdhsa_round_robin_scheduling 0
		.amdhsa_exception_fp_ieee_invalid_op 0
		.amdhsa_exception_fp_denorm_src 0
		.amdhsa_exception_fp_ieee_div_zero 0
		.amdhsa_exception_fp_ieee_overflow 0
		.amdhsa_exception_fp_ieee_underflow 0
		.amdhsa_exception_fp_ieee_inexact 0
		.amdhsa_exception_int_div_zero 0
	.end_amdhsa_kernel
	.text
.Lfunc_end0:
	.size	fft_rtc_back_len1456_factors_13_4_7_2_2_wgs_182_tpt_182_halfLds_half_op_CI_CI_unitstride_sbrr_R2C_dirReg, .Lfunc_end0-fft_rtc_back_len1456_factors_13_4_7_2_2_wgs_182_tpt_182_halfLds_half_op_CI_CI_unitstride_sbrr_R2C_dirReg
                                        ; -- End function
	.section	.AMDGPU.csdata,"",@progbits
; Kernel info:
; codeLenInByte = 10188
; NumSgprs: 41
; NumVgprs: 113
; ScratchSize: 0
; MemoryBound: 0
; FloatMode: 240
; IeeeMode: 1
; LDSByteSize: 0 bytes/workgroup (compile time only)
; SGPRBlocks: 5
; VGPRBlocks: 14
; NumSGPRsForWavesPerEU: 41
; NumVGPRsForWavesPerEU: 113
; Occupancy: 12
; WaveLimiterHint : 1
; COMPUTE_PGM_RSRC2:SCRATCH_EN: 0
; COMPUTE_PGM_RSRC2:USER_SGPR: 2
; COMPUTE_PGM_RSRC2:TRAP_HANDLER: 0
; COMPUTE_PGM_RSRC2:TGID_X_EN: 1
; COMPUTE_PGM_RSRC2:TGID_Y_EN: 0
; COMPUTE_PGM_RSRC2:TGID_Z_EN: 0
; COMPUTE_PGM_RSRC2:TIDIG_COMP_CNT: 0
	.text
	.p2alignl 7, 3214868480
	.fill 96, 4, 3214868480
	.type	__hip_cuid_e6bba5578c0fba48,@object ; @__hip_cuid_e6bba5578c0fba48
	.section	.bss,"aw",@nobits
	.globl	__hip_cuid_e6bba5578c0fba48
__hip_cuid_e6bba5578c0fba48:
	.byte	0                               ; 0x0
	.size	__hip_cuid_e6bba5578c0fba48, 1

	.ident	"AMD clang version 19.0.0git (https://github.com/RadeonOpenCompute/llvm-project roc-6.4.0 25133 c7fe45cf4b819c5991fe208aaa96edf142730f1d)"
	.section	".note.GNU-stack","",@progbits
	.addrsig
	.addrsig_sym __hip_cuid_e6bba5578c0fba48
	.amdgpu_metadata
---
amdhsa.kernels:
  - .args:
      - .actual_access:  read_only
        .address_space:  global
        .offset:         0
        .size:           8
        .value_kind:     global_buffer
      - .offset:         8
        .size:           8
        .value_kind:     by_value
      - .actual_access:  read_only
        .address_space:  global
        .offset:         16
        .size:           8
        .value_kind:     global_buffer
      - .actual_access:  read_only
        .address_space:  global
        .offset:         24
        .size:           8
        .value_kind:     global_buffer
      - .actual_access:  read_only
        .address_space:  global
        .offset:         32
        .size:           8
        .value_kind:     global_buffer
      - .offset:         40
        .size:           8
        .value_kind:     by_value
      - .actual_access:  read_only
        .address_space:  global
        .offset:         48
        .size:           8
        .value_kind:     global_buffer
      - .actual_access:  read_only
        .address_space:  global
        .offset:         56
        .size:           8
        .value_kind:     global_buffer
      - .offset:         64
        .size:           4
        .value_kind:     by_value
      - .actual_access:  read_only
        .address_space:  global
        .offset:         72
        .size:           8
        .value_kind:     global_buffer
      - .actual_access:  read_only
        .address_space:  global
        .offset:         80
        .size:           8
        .value_kind:     global_buffer
      - .actual_access:  read_only
        .address_space:  global
        .offset:         88
        .size:           8
        .value_kind:     global_buffer
      - .actual_access:  write_only
        .address_space:  global
        .offset:         96
        .size:           8
        .value_kind:     global_buffer
    .group_segment_fixed_size: 0
    .kernarg_segment_align: 8
    .kernarg_segment_size: 104
    .language:       OpenCL C
    .language_version:
      - 2
      - 0
    .max_flat_workgroup_size: 182
    .name:           fft_rtc_back_len1456_factors_13_4_7_2_2_wgs_182_tpt_182_halfLds_half_op_CI_CI_unitstride_sbrr_R2C_dirReg
    .private_segment_fixed_size: 0
    .sgpr_count:     41
    .sgpr_spill_count: 0
    .symbol:         fft_rtc_back_len1456_factors_13_4_7_2_2_wgs_182_tpt_182_halfLds_half_op_CI_CI_unitstride_sbrr_R2C_dirReg.kd
    .uniform_work_group_size: 1
    .uses_dynamic_stack: false
    .vgpr_count:     113
    .vgpr_spill_count: 0
    .wavefront_size: 32
    .workgroup_processor_mode: 1
amdhsa.target:   amdgcn-amd-amdhsa--gfx1201
amdhsa.version:
  - 1
  - 2
...

	.end_amdgpu_metadata
